;; amdgpu-corpus repo=ROCm/rocFFT kind=compiled arch=gfx1201 opt=O3
	.text
	.amdgcn_target "amdgcn-amd-amdhsa--gfx1201"
	.amdhsa_code_object_version 6
	.protected	fft_rtc_back_len1326_factors_17_6_13_wgs_204_tpt_102_halfLds_half_ip_CI_sbrr_dirReg ; -- Begin function fft_rtc_back_len1326_factors_17_6_13_wgs_204_tpt_102_halfLds_half_ip_CI_sbrr_dirReg
	.globl	fft_rtc_back_len1326_factors_17_6_13_wgs_204_tpt_102_halfLds_half_ip_CI_sbrr_dirReg
	.p2align	8
	.type	fft_rtc_back_len1326_factors_17_6_13_wgs_204_tpt_102_halfLds_half_ip_CI_sbrr_dirReg,@function
fft_rtc_back_len1326_factors_17_6_13_wgs_204_tpt_102_halfLds_half_ip_CI_sbrr_dirReg: ; @fft_rtc_back_len1326_factors_17_6_13_wgs_204_tpt_102_halfLds_half_ip_CI_sbrr_dirReg
; %bb.0:
	s_clause 0x2
	s_load_b64 s[12:13], s[0:1], 0x18
	s_load_b128 s[4:7], s[0:1], 0x0
	s_load_b64 s[10:11], s[0:1], 0x50
	v_mul_u32_u24_e32 v1, 0x283, v0
	v_mov_b32_e32 v3, 0
	s_delay_alu instid0(VALU_DEP_2) | instskip(SKIP_2) | instid1(VALU_DEP_4)
	v_lshrrev_b32_e32 v11, 16, v1
	v_mov_b32_e32 v1, 0
	v_mov_b32_e32 v2, 0
	;; [unrolled: 1-line block ×3, first 2 shown]
	s_delay_alu instid0(VALU_DEP_4) | instskip(SKIP_3) | instid1(VALU_DEP_1)
	v_lshl_add_u32 v5, ttmp9, 1, v11
	s_wait_kmcnt 0x0
	s_load_b64 s[8:9], s[12:13], 0x0
	v_cmp_lt_u64_e64 s2, s[6:7], 2
	s_and_b32 vcc_lo, exec_lo, s2
	s_cbranch_vccnz .LBB0_8
; %bb.1:
	s_load_b64 s[2:3], s[0:1], 0x10
	v_mov_b32_e32 v1, 0
	v_mov_b32_e32 v2, 0
	s_add_nc_u64 s[14:15], s[12:13], 8
	s_mov_b64 s[16:17], 1
	s_wait_kmcnt 0x0
	s_add_nc_u64 s[18:19], s[2:3], 8
	s_mov_b32 s3, 0
.LBB0_2:                                ; =>This Inner Loop Header: Depth=1
	s_load_b64 s[20:21], s[18:19], 0x0
                                        ; implicit-def: $vgpr7_vgpr8
	s_mov_b32 s2, exec_lo
	s_wait_kmcnt 0x0
	v_or_b32_e32 v4, s21, v6
	s_delay_alu instid0(VALU_DEP_1)
	v_cmpx_ne_u64_e32 0, v[3:4]
	s_wait_alu 0xfffe
	s_xor_b32 s22, exec_lo, s2
	s_cbranch_execz .LBB0_4
; %bb.3:                                ;   in Loop: Header=BB0_2 Depth=1
	s_cvt_f32_u32 s2, s20
	s_cvt_f32_u32 s23, s21
	s_sub_nc_u64 s[26:27], 0, s[20:21]
	s_wait_alu 0xfffe
	s_delay_alu instid0(SALU_CYCLE_1) | instskip(SKIP_1) | instid1(SALU_CYCLE_2)
	s_fmamk_f32 s2, s23, 0x4f800000, s2
	s_wait_alu 0xfffe
	v_s_rcp_f32 s2, s2
	s_delay_alu instid0(TRANS32_DEP_1) | instskip(SKIP_1) | instid1(SALU_CYCLE_2)
	s_mul_f32 s2, s2, 0x5f7ffffc
	s_wait_alu 0xfffe
	s_mul_f32 s23, s2, 0x2f800000
	s_wait_alu 0xfffe
	s_delay_alu instid0(SALU_CYCLE_2) | instskip(SKIP_1) | instid1(SALU_CYCLE_2)
	s_trunc_f32 s23, s23
	s_wait_alu 0xfffe
	s_fmamk_f32 s2, s23, 0xcf800000, s2
	s_cvt_u32_f32 s25, s23
	s_wait_alu 0xfffe
	s_delay_alu instid0(SALU_CYCLE_1) | instskip(SKIP_1) | instid1(SALU_CYCLE_2)
	s_cvt_u32_f32 s24, s2
	s_wait_alu 0xfffe
	s_mul_u64 s[28:29], s[26:27], s[24:25]
	s_wait_alu 0xfffe
	s_mul_hi_u32 s31, s24, s29
	s_mul_i32 s30, s24, s29
	s_mul_hi_u32 s2, s24, s28
	s_mul_i32 s33, s25, s28
	s_wait_alu 0xfffe
	s_add_nc_u64 s[30:31], s[2:3], s[30:31]
	s_mul_hi_u32 s23, s25, s28
	s_mul_hi_u32 s34, s25, s29
	s_add_co_u32 s2, s30, s33
	s_wait_alu 0xfffe
	s_add_co_ci_u32 s2, s31, s23
	s_mul_i32 s28, s25, s29
	s_add_co_ci_u32 s29, s34, 0
	s_wait_alu 0xfffe
	s_add_nc_u64 s[28:29], s[2:3], s[28:29]
	s_wait_alu 0xfffe
	v_add_co_u32 v4, s2, s24, s28
	s_delay_alu instid0(VALU_DEP_1) | instskip(SKIP_1) | instid1(VALU_DEP_1)
	s_cmp_lg_u32 s2, 0
	s_add_co_ci_u32 s25, s25, s29
	v_readfirstlane_b32 s24, v4
	s_wait_alu 0xfffe
	s_delay_alu instid0(VALU_DEP_1)
	s_mul_u64 s[26:27], s[26:27], s[24:25]
	s_wait_alu 0xfffe
	s_mul_hi_u32 s29, s24, s27
	s_mul_i32 s28, s24, s27
	s_mul_hi_u32 s2, s24, s26
	s_mul_i32 s30, s25, s26
	s_wait_alu 0xfffe
	s_add_nc_u64 s[28:29], s[2:3], s[28:29]
	s_mul_hi_u32 s23, s25, s26
	s_mul_hi_u32 s24, s25, s27
	s_wait_alu 0xfffe
	s_add_co_u32 s2, s28, s30
	s_add_co_ci_u32 s2, s29, s23
	s_mul_i32 s26, s25, s27
	s_add_co_ci_u32 s27, s24, 0
	s_wait_alu 0xfffe
	s_add_nc_u64 s[26:27], s[2:3], s[26:27]
	s_wait_alu 0xfffe
	v_add_co_u32 v4, s2, v4, s26
	s_delay_alu instid0(VALU_DEP_1) | instskip(SKIP_1) | instid1(VALU_DEP_1)
	s_cmp_lg_u32 s2, 0
	s_add_co_ci_u32 s2, s25, s27
	v_mul_hi_u32 v14, v5, v4
	s_wait_alu 0xfffe
	v_mad_co_u64_u32 v[7:8], null, v5, s2, 0
	v_mad_co_u64_u32 v[9:10], null, v6, v4, 0
	;; [unrolled: 1-line block ×3, first 2 shown]
	s_delay_alu instid0(VALU_DEP_3) | instskip(SKIP_1) | instid1(VALU_DEP_4)
	v_add_co_u32 v4, vcc_lo, v14, v7
	s_wait_alu 0xfffd
	v_add_co_ci_u32_e32 v7, vcc_lo, 0, v8, vcc_lo
	s_delay_alu instid0(VALU_DEP_2) | instskip(SKIP_1) | instid1(VALU_DEP_2)
	v_add_co_u32 v4, vcc_lo, v4, v9
	s_wait_alu 0xfffd
	v_add_co_ci_u32_e32 v4, vcc_lo, v7, v10, vcc_lo
	s_wait_alu 0xfffd
	v_add_co_ci_u32_e32 v7, vcc_lo, 0, v13, vcc_lo
	s_delay_alu instid0(VALU_DEP_2) | instskip(SKIP_1) | instid1(VALU_DEP_2)
	v_add_co_u32 v4, vcc_lo, v4, v12
	s_wait_alu 0xfffd
	v_add_co_ci_u32_e32 v9, vcc_lo, 0, v7, vcc_lo
	s_delay_alu instid0(VALU_DEP_2) | instskip(SKIP_1) | instid1(VALU_DEP_3)
	v_mul_lo_u32 v10, s21, v4
	v_mad_co_u64_u32 v[7:8], null, s20, v4, 0
	v_mul_lo_u32 v12, s20, v9
	s_delay_alu instid0(VALU_DEP_2) | instskip(NEXT) | instid1(VALU_DEP_2)
	v_sub_co_u32 v7, vcc_lo, v5, v7
	v_add3_u32 v8, v8, v12, v10
	s_delay_alu instid0(VALU_DEP_1) | instskip(SKIP_1) | instid1(VALU_DEP_1)
	v_sub_nc_u32_e32 v10, v6, v8
	s_wait_alu 0xfffd
	v_subrev_co_ci_u32_e64 v10, s2, s21, v10, vcc_lo
	v_add_co_u32 v12, s2, v4, 2
	s_wait_alu 0xf1ff
	v_add_co_ci_u32_e64 v13, s2, 0, v9, s2
	v_sub_co_u32 v14, s2, v7, s20
	v_sub_co_ci_u32_e32 v8, vcc_lo, v6, v8, vcc_lo
	s_wait_alu 0xf1ff
	v_subrev_co_ci_u32_e64 v10, s2, 0, v10, s2
	s_delay_alu instid0(VALU_DEP_3) | instskip(NEXT) | instid1(VALU_DEP_3)
	v_cmp_le_u32_e32 vcc_lo, s20, v14
	v_cmp_eq_u32_e64 s2, s21, v8
	s_wait_alu 0xfffd
	v_cndmask_b32_e64 v14, 0, -1, vcc_lo
	v_cmp_le_u32_e32 vcc_lo, s21, v10
	s_wait_alu 0xfffd
	v_cndmask_b32_e64 v15, 0, -1, vcc_lo
	v_cmp_le_u32_e32 vcc_lo, s20, v7
	;; [unrolled: 3-line block ×3, first 2 shown]
	s_wait_alu 0xfffd
	v_cndmask_b32_e64 v16, 0, -1, vcc_lo
	v_cmp_eq_u32_e32 vcc_lo, s21, v10
	s_wait_alu 0xf1ff
	s_delay_alu instid0(VALU_DEP_2)
	v_cndmask_b32_e64 v7, v16, v7, s2
	s_wait_alu 0xfffd
	v_cndmask_b32_e32 v10, v15, v14, vcc_lo
	v_add_co_u32 v14, vcc_lo, v4, 1
	s_wait_alu 0xfffd
	v_add_co_ci_u32_e32 v15, vcc_lo, 0, v9, vcc_lo
	s_delay_alu instid0(VALU_DEP_3) | instskip(SKIP_2) | instid1(VALU_DEP_3)
	v_cmp_ne_u32_e32 vcc_lo, 0, v10
	s_wait_alu 0xfffd
	v_cndmask_b32_e32 v10, v14, v12, vcc_lo
	v_cndmask_b32_e32 v8, v15, v13, vcc_lo
	v_cmp_ne_u32_e32 vcc_lo, 0, v7
	s_wait_alu 0xfffd
	s_delay_alu instid0(VALU_DEP_2)
	v_dual_cndmask_b32 v7, v4, v10 :: v_dual_cndmask_b32 v8, v9, v8
.LBB0_4:                                ;   in Loop: Header=BB0_2 Depth=1
	s_wait_alu 0xfffe
	s_and_not1_saveexec_b32 s2, s22
	s_cbranch_execz .LBB0_6
; %bb.5:                                ;   in Loop: Header=BB0_2 Depth=1
	v_cvt_f32_u32_e32 v4, s20
	s_sub_co_i32 s22, 0, s20
	s_delay_alu instid0(VALU_DEP_1) | instskip(NEXT) | instid1(TRANS32_DEP_1)
	v_rcp_iflag_f32_e32 v4, v4
	v_mul_f32_e32 v4, 0x4f7ffffe, v4
	s_delay_alu instid0(VALU_DEP_1) | instskip(SKIP_1) | instid1(VALU_DEP_1)
	v_cvt_u32_f32_e32 v4, v4
	s_wait_alu 0xfffe
	v_mul_lo_u32 v7, s22, v4
	s_delay_alu instid0(VALU_DEP_1) | instskip(NEXT) | instid1(VALU_DEP_1)
	v_mul_hi_u32 v7, v4, v7
	v_add_nc_u32_e32 v4, v4, v7
	s_delay_alu instid0(VALU_DEP_1) | instskip(NEXT) | instid1(VALU_DEP_1)
	v_mul_hi_u32 v4, v5, v4
	v_mul_lo_u32 v7, v4, s20
	v_add_nc_u32_e32 v8, 1, v4
	s_delay_alu instid0(VALU_DEP_2) | instskip(NEXT) | instid1(VALU_DEP_1)
	v_sub_nc_u32_e32 v7, v5, v7
	v_subrev_nc_u32_e32 v9, s20, v7
	v_cmp_le_u32_e32 vcc_lo, s20, v7
	s_wait_alu 0xfffd
	s_delay_alu instid0(VALU_DEP_2) | instskip(NEXT) | instid1(VALU_DEP_1)
	v_dual_cndmask_b32 v7, v7, v9 :: v_dual_cndmask_b32 v4, v4, v8
	v_cmp_le_u32_e32 vcc_lo, s20, v7
	s_delay_alu instid0(VALU_DEP_2) | instskip(SKIP_1) | instid1(VALU_DEP_1)
	v_add_nc_u32_e32 v8, 1, v4
	s_wait_alu 0xfffd
	v_dual_cndmask_b32 v7, v4, v8 :: v_dual_mov_b32 v8, v3
.LBB0_6:                                ;   in Loop: Header=BB0_2 Depth=1
	s_wait_alu 0xfffe
	s_or_b32 exec_lo, exec_lo, s2
	s_load_b64 s[22:23], s[14:15], 0x0
	s_delay_alu instid0(VALU_DEP_1)
	v_mul_lo_u32 v4, v8, s20
	v_mul_lo_u32 v12, v7, s21
	v_mad_co_u64_u32 v[9:10], null, v7, s20, 0
	s_add_nc_u64 s[16:17], s[16:17], 1
	s_add_nc_u64 s[14:15], s[14:15], 8
	s_wait_alu 0xfffe
	v_cmp_ge_u64_e64 s2, s[16:17], s[6:7]
	s_add_nc_u64 s[18:19], s[18:19], 8
	s_delay_alu instid0(VALU_DEP_2) | instskip(NEXT) | instid1(VALU_DEP_3)
	v_add3_u32 v4, v10, v12, v4
	v_sub_co_u32 v5, vcc_lo, v5, v9
	s_wait_alu 0xfffd
	s_delay_alu instid0(VALU_DEP_2) | instskip(SKIP_3) | instid1(VALU_DEP_2)
	v_sub_co_ci_u32_e32 v4, vcc_lo, v6, v4, vcc_lo
	s_and_b32 vcc_lo, exec_lo, s2
	s_wait_kmcnt 0x0
	v_mul_lo_u32 v6, s23, v5
	v_mul_lo_u32 v4, s22, v4
	v_mad_co_u64_u32 v[1:2], null, s22, v5, v[1:2]
	s_delay_alu instid0(VALU_DEP_1)
	v_add3_u32 v2, v6, v2, v4
	s_wait_alu 0xfffe
	s_cbranch_vccnz .LBB0_9
; %bb.7:                                ;   in Loop: Header=BB0_2 Depth=1
	v_dual_mov_b32 v5, v7 :: v_dual_mov_b32 v6, v8
	s_branch .LBB0_2
.LBB0_8:
	v_dual_mov_b32 v8, v6 :: v_dual_mov_b32 v7, v5
.LBB0_9:
	s_lshl_b64 s[2:3], s[6:7], 3
	v_mul_hi_u32 v3, 0x2828283, v0
	s_wait_alu 0xfffe
	s_add_nc_u64 s[2:3], s[12:13], s[2:3]
	v_dual_mov_b32 v18, 0 :: v_dual_mov_b32 v9, 0
	s_load_b64 s[2:3], s[2:3], 0x0
	s_load_b64 s[0:1], s[0:1], 0x20
	v_mov_b32_e32 v34, 0
                                        ; implicit-def: $vgpr28
                                        ; implicit-def: $vgpr33
                                        ; implicit-def: $vgpr27
                                        ; implicit-def: $vgpr32
                                        ; implicit-def: $vgpr26
                                        ; implicit-def: $vgpr31
                                        ; implicit-def: $vgpr25
                                        ; implicit-def: $vgpr30
                                        ; implicit-def: $vgpr24
                                        ; implicit-def: $vgpr29
                                        ; implicit-def: $vgpr23
                                        ; implicit-def: $vgpr22
                                        ; implicit-def: $vgpr21
                                        ; implicit-def: $vgpr35
                                        ; implicit-def: $vgpr44
                                        ; implicit-def: $vgpr43
                                        ; implicit-def: $vgpr14
                                        ; implicit-def: $vgpr42
                                        ; implicit-def: $vgpr15
                                        ; implicit-def: $vgpr41
                                        ; implicit-def: $vgpr16
                                        ; implicit-def: $vgpr39
                                        ; implicit-def: $vgpr17
                                        ; implicit-def: $vgpr38
                                        ; implicit-def: $vgpr19
                                        ; implicit-def: $vgpr36
                                        ; implicit-def: $vgpr20
	s_wait_kmcnt 0x0
	v_mul_lo_u32 v6, s2, v8
	v_mul_lo_u32 v12, s3, v7
	v_mad_co_u64_u32 v[4:5], null, s2, v7, v[1:2]
	v_mul_u32_u24_e32 v1, 0x66, v3
	v_cmp_gt_u64_e32 vcc_lo, s[0:1], v[7:8]
                                        ; implicit-def: $vgpr3
                                        ; implicit-def: $vgpr2
	s_delay_alu instid0(VALU_DEP_2) | instskip(NEXT) | instid1(VALU_DEP_4)
	v_sub_nc_u32_e32 v10, v0, v1
	v_add3_u32 v5, v12, v5, v6
                                        ; implicit-def: $vgpr0
                                        ; implicit-def: $vgpr1
	s_and_saveexec_b32 s1, vcc_lo
	s_cbranch_execz .LBB0_13
; %bb.10:
	s_delay_alu instid0(VALU_DEP_2) | instskip(SKIP_2) | instid1(VALU_DEP_3)
	v_cmp_gt_u32_e64 s0, 0x4e, v10
	v_mov_b32_e32 v34, 0
	v_mov_b32_e32 v18, 0
                                        ; implicit-def: $vgpr20
                                        ; implicit-def: $vgpr36
                                        ; implicit-def: $vgpr19
                                        ; implicit-def: $vgpr38
                                        ; implicit-def: $vgpr17
                                        ; implicit-def: $vgpr39
                                        ; implicit-def: $vgpr16
                                        ; implicit-def: $vgpr41
                                        ; implicit-def: $vgpr15
                                        ; implicit-def: $vgpr42
                                        ; implicit-def: $vgpr14
                                        ; implicit-def: $vgpr43
                                        ; implicit-def: $vgpr1
                                        ; implicit-def: $vgpr44
                                        ; implicit-def: $vgpr0
                                        ; implicit-def: $vgpr35
                                        ; implicit-def: $vgpr21
                                        ; implicit-def: $vgpr2
                                        ; implicit-def: $vgpr22
                                        ; implicit-def: $vgpr3
                                        ; implicit-def: $vgpr23
                                        ; implicit-def: $vgpr29
                                        ; implicit-def: $vgpr24
                                        ; implicit-def: $vgpr30
                                        ; implicit-def: $vgpr25
                                        ; implicit-def: $vgpr31
                                        ; implicit-def: $vgpr26
                                        ; implicit-def: $vgpr32
                                        ; implicit-def: $vgpr27
                                        ; implicit-def: $vgpr33
                                        ; implicit-def: $vgpr28
	s_and_saveexec_b32 s2, s0
	s_cbranch_execz .LBB0_12
; %bb.11:
	v_add_nc_u32_e32 v9, 0x4e, v10
	v_mad_co_u64_u32 v[0:1], null, s8, v10, 0
	v_add_nc_u32_e32 v17, 0xea, v10
	v_lshlrev_b64_e32 v[12:13], 2, v[4:5]
	s_delay_alu instid0(VALU_DEP_4) | instskip(SKIP_1) | instid1(VALU_DEP_4)
	v_mad_co_u64_u32 v[2:3], null, s8, v9, 0
	v_add_nc_u32_e32 v20, 0x186, v10
	v_mad_co_u64_u32 v[14:15], null, s8, v17, 0
	s_delay_alu instid0(VALU_DEP_4)
	v_add_co_u32 v36, s0, s10, v12
	s_wait_alu 0xf1ff
	v_add_co_ci_u32_e64 v37, s0, s11, v13, s0
	v_mad_co_u64_u32 v[6:7], null, s9, v10, v[1:2]
	v_add_nc_u32_e32 v16, 0x9c, v10
	v_add_nc_u32_e32 v22, 0x1d4, v10
	;; [unrolled: 1-line block ×5, first 2 shown]
	v_dual_mov_b32 v1, v6 :: v_dual_add_nc_u32 v28, 0x2be, v10
	v_mad_co_u64_u32 v[7:8], null, s8, v16, 0
	s_delay_alu instid0(VALU_DEP_2) | instskip(NEXT) | instid1(VALU_DEP_3)
	v_mad_co_u64_u32 v[24:25], null, s8, v28, 0
	v_lshlrev_b64_e32 v[0:1], 2, v[0:1]
	s_delay_alu instid0(VALU_DEP_3) | instskip(SKIP_2) | instid1(VALU_DEP_4)
	v_mov_b32_e32 v6, v8
	v_mad_co_u64_u32 v[8:9], null, s9, v9, v[3:4]
	v_add_nc_u32_e32 v18, 0x138, v10
	v_add_co_u32 v0, s0, v36, v0
	s_delay_alu instid0(VALU_DEP_4) | instskip(NEXT) | instid1(VALU_DEP_4)
	v_mad_co_u64_u32 v[12:13], null, s9, v16, v[6:7]
	v_dual_mov_b32 v6, v15 :: v_dual_mov_b32 v3, v8
	s_wait_alu 0xf1ff
	v_add_co_ci_u32_e64 v1, s0, v37, v1, s0
	s_delay_alu instid0(VALU_DEP_2)
	v_mad_co_u64_u32 v[15:16], null, s9, v17, v[6:7]
	v_mad_co_u64_u32 v[16:17], null, s8, v20, 0
	v_mov_b32_e32 v8, v12
	v_mad_co_u64_u32 v[12:13], null, s8, v18, 0
	v_lshlrev_b64_e32 v[2:3], 2, v[2:3]
	v_lshlrev_b64_e32 v[14:15], 2, v[14:15]
	s_delay_alu instid0(VALU_DEP_4) | instskip(NEXT) | instid1(VALU_DEP_4)
	v_lshlrev_b64_e32 v[6:7], 2, v[7:8]
	v_mov_b32_e32 v8, v13
	s_delay_alu instid0(VALU_DEP_4) | instskip(SKIP_2) | instid1(VALU_DEP_3)
	v_add_co_u32 v2, s0, v36, v2
	s_wait_alu 0xf1ff
	v_add_co_ci_u32_e64 v3, s0, v37, v3, s0
	v_mad_co_u64_u32 v[8:9], null, s9, v18, v[8:9]
	v_mov_b32_e32 v9, v17
	v_mad_co_u64_u32 v[18:19], null, s8, v22, 0
	v_add_co_u32 v6, s0, v36, v6
	s_wait_alu 0xf1ff
	v_add_co_ci_u32_e64 v7, s0, v37, v7, s0
	v_mov_b32_e32 v13, v8
	v_mad_co_u64_u32 v[8:9], null, s9, v20, v[9:10]
	v_mov_b32_e32 v9, v19
	v_mad_co_u64_u32 v[20:21], null, s8, v23, 0
	s_delay_alu instid0(VALU_DEP_4)
	v_lshlrev_b64_e32 v[12:13], 2, v[12:13]
	v_add_co_u32 v14, s0, v36, v14
	v_mov_b32_e32 v17, v8
	v_mad_co_u64_u32 v[8:9], null, s9, v22, v[9:10]
	v_mov_b32_e32 v9, v21
	s_wait_alu 0xf1ff
	v_add_co_ci_u32_e64 v15, s0, v37, v15, s0
	v_lshlrev_b64_e32 v[16:17], 2, v[16:17]
	v_add_co_u32 v12, s0, v36, v12
	v_mov_b32_e32 v19, v8
	v_mad_co_u64_u32 v[8:9], null, s9, v23, v[9:10]
	v_mad_co_u64_u32 v[22:23], null, s8, v26, 0
	s_wait_alu 0xf1ff
	v_add_co_ci_u32_e64 v13, s0, v37, v13, s0
	v_add_co_u32 v16, s0, v36, v16
	s_delay_alu instid0(VALU_DEP_4)
	v_mov_b32_e32 v21, v8
	v_lshlrev_b64_e32 v[8:9], 2, v[18:19]
	v_mov_b32_e32 v18, v23
	s_wait_alu 0xf1ff
	v_add_co_ci_u32_e64 v17, s0, v37, v17, s0
	v_lshlrev_b64_e32 v[19:20], 2, v[20:21]
	v_add_nc_u32_e32 v21, 0x30c, v10
	v_add_co_u32 v8, s0, v36, v8
	s_wait_alu 0xf1ff
	v_add_co_ci_u32_e64 v9, s0, v37, v9, s0
	s_delay_alu instid0(VALU_DEP_4)
	v_mad_co_u64_u32 v[26:27], null, s9, v26, v[18:19]
	v_mov_b32_e32 v18, v25
	v_add_co_u32 v19, s0, v36, v19
	s_wait_alu 0xf1ff
	v_add_co_ci_u32_e64 v20, s0, v37, v20, s0
	s_clause 0x7
	global_load_b32 v40, v[0:1], off
	global_load_b32 v33, v[2:3], off
	;; [unrolled: 1-line block ×8, first 2 shown]
	v_mov_b32_e32 v23, v26
	v_mad_co_u64_u32 v[25:26], null, s9, v28, v[18:19]
	v_add_nc_u32_e32 v18, 0x35a, v10
	v_mad_co_u64_u32 v[26:27], null, s8, v21, 0
	s_delay_alu instid0(VALU_DEP_4) | instskip(NEXT) | instid1(VALU_DEP_3)
	v_lshlrev_b64_e32 v[0:1], 2, v[22:23]
	v_mad_co_u64_u32 v[7:8], null, s8, v18, 0
	s_delay_alu instid0(VALU_DEP_3) | instskip(NEXT) | instid1(VALU_DEP_3)
	v_mov_b32_e32 v6, v27
	v_add_co_u32 v0, s0, v36, v0
	s_wait_alu 0xf1ff
	s_delay_alu instid0(VALU_DEP_4) | instskip(NEXT) | instid1(VALU_DEP_3)
	v_add_co_ci_u32_e64 v1, s0, v37, v1, s0
	v_mad_co_u64_u32 v[12:13], null, s9, v21, v[6:7]
	v_dual_mov_b32 v6, v8 :: v_dual_add_nc_u32 v21, 0x3a8, v10
	v_lshlrev_b64_e32 v[8:9], 2, v[24:25]
	v_mad_co_u64_u32 v[24:25], null, s8, v34, 0
	s_delay_alu instid0(VALU_DEP_4) | instskip(NEXT) | instid1(VALU_DEP_4)
	v_mov_b32_e32 v27, v12
	v_mad_co_u64_u32 v[12:13], null, s9, v18, v[6:7]
	v_mad_co_u64_u32 v[13:14], null, s8, v21, 0
	v_add_co_u32 v15, s0, v36, v8
	s_wait_alu 0xf1ff
	v_add_co_ci_u32_e64 v16, s0, v37, v9, s0
	s_delay_alu instid0(VALU_DEP_4) | instskip(NEXT) | instid1(VALU_DEP_4)
	v_dual_mov_b32 v8, v12 :: v_dual_add_nc_u32 v9, 0x3f6, v10
	v_mov_b32_e32 v6, v14
	v_add_nc_u32_e32 v12, 0x444, v10
	v_lshlrev_b64_e32 v[17:18], 2, v[26:27]
	s_delay_alu instid0(VALU_DEP_4) | instskip(NEXT) | instid1(VALU_DEP_4)
	v_mad_co_u64_u32 v[19:20], null, s8, v9, 0
	v_mad_co_u64_u32 v[21:22], null, s9, v21, v[6:7]
	s_delay_alu instid0(VALU_DEP_4)
	v_mad_co_u64_u32 v[22:23], null, s8, v12, 0
	v_lshlrev_b64_e32 v[7:8], 2, v[7:8]
	v_add_co_u32 v17, s0, v36, v17
	v_mov_b32_e32 v6, v20
	v_mov_b32_e32 v14, v21
	s_wait_alu 0xf1ff
	v_add_co_ci_u32_e64 v18, s0, v37, v18, s0
	s_delay_alu instid0(VALU_DEP_3) | instskip(SKIP_1) | instid1(VALU_DEP_1)
	v_mad_co_u64_u32 v[20:21], null, s9, v9, v[6:7]
	v_dual_mov_b32 v6, v23 :: v_dual_add_nc_u32 v21, 0x4e0, v10
	v_mad_co_u64_u32 v[26:27], null, s9, v12, v[6:7]
	s_delay_alu instid0(VALU_DEP_2) | instskip(SKIP_3) | instid1(VALU_DEP_4)
	v_mad_co_u64_u32 v[27:28], null, s8, v21, 0
	v_add_co_u32 v6, s0, v36, v7
	s_wait_alu 0xf1ff
	v_add_co_ci_u32_e64 v7, s0, v37, v8, s0
	v_dual_mov_b32 v8, v25 :: v_dual_mov_b32 v23, v26
	v_lshlrev_b64_e32 v[19:20], 2, v[19:20]
	s_delay_alu instid0(VALU_DEP_2) | instskip(SKIP_2) | instid1(VALU_DEP_2)
	v_mad_co_u64_u32 v[8:9], null, s9, v34, v[8:9]
	v_mov_b32_e32 v9, v28
	v_lshlrev_b64_e32 v[12:13], 2, v[13:14]
	v_mad_co_u64_u32 v[34:35], null, s9, v21, v[9:10]
	s_delay_alu instid0(VALU_DEP_2) | instskip(SKIP_2) | instid1(VALU_DEP_4)
	v_add_co_u32 v12, s0, v36, v12
	v_mov_b32_e32 v25, v8
	s_wait_alu 0xf1ff
	v_add_co_ci_u32_e64 v13, s0, v37, v13, s0
	v_lshlrev_b64_e32 v[21:22], 2, v[22:23]
	v_add_co_u32 v8, s0, v36, v19
	v_mov_b32_e32 v28, v34
	s_wait_alu 0xf1ff
	v_add_co_ci_u32_e64 v9, s0, v37, v20, s0
	v_lshlrev_b64_e32 v[19:20], 2, v[24:25]
	v_add_co_u32 v21, s0, v36, v21
	v_lshlrev_b64_e32 v[23:24], 2, v[27:28]
	s_wait_alu 0xf1ff
	v_add_co_ci_u32_e64 v22, s0, v37, v22, s0
	s_delay_alu instid0(VALU_DEP_4)
	v_add_co_u32 v19, s0, v36, v19
	s_wait_alu 0xf1ff
	v_add_co_ci_u32_e64 v20, s0, v37, v20, s0
	v_add_co_u32 v23, s0, v36, v23
	s_wait_alu 0xf1ff
	v_add_co_ci_u32_e64 v24, s0, v37, v24, s0
	s_clause 0x8
	global_load_b32 v35, v[0:1], off
	global_load_b32 v34, v[15:16], off
	;; [unrolled: 1-line block ×9, first 2 shown]
	s_wait_loadcnt 0x10
	v_lshrrev_b32_e32 v18, 16, v40
	s_wait_loadcnt 0xf
	v_lshrrev_b32_e32 v28, 16, v33
	;; [unrolled: 2-line block ×17, first 2 shown]
	v_perm_b32 v34, v40, v34, 0x5040100
.LBB0_12:
	s_wait_alu 0xfffe
	s_or_b32 exec_lo, exec_lo, s2
	v_mov_b32_e32 v9, v10
.LBB0_13:
	s_wait_alu 0xfffe
	s_or_b32 exec_lo, exec_lo, s1
	v_sub_f16_e32 v37, v28, v0
	v_add_f16_e32 v58, v33, v44
	v_sub_f16_e32 v40, v27, v1
	v_lshrrev_b32_e32 v73, 16, v34
	v_add_f16_e32 v59, v32, v43
	v_mul_f16_e32 v63, 0xbbb2, v37
	v_sub_f16_e32 v45, v26, v14
	v_mul_f16_e32 v62, 0x3836, v40
	v_add_f16_e32 v49, v31, v42
	v_sub_f16_e32 v48, v25, v15
	v_fma_f16 v7, v58, 0xb461, -v63
	v_mul_f16_e32 v55, 0x3964, v45
	v_fma_f16 v8, v59, 0xbacd, -v62
	v_and_b32_e32 v6, 1, v11
	v_add_f16_e32 v53, v30, v41
	v_add_f16_e32 v7, v73, v7
	v_sub_f16_e32 v51, v24, v16
	v_mul_f16_e32 v46, 0xbb29, v48
	v_fma_f16 v11, v49, 0x39e9, -v55
	v_add_f16_e32 v56, v29, v39
	v_add_f16_e32 v7, v7, v8
	v_sub_f16_e32 v54, v23, v17
	v_mul_f16_e32 v47, 0xb1e1, v51
	v_fma_f16 v8, v53, 0x3722, -v46
	;; [unrolled: 5-line block ×3, first 2 shown]
	v_add_f16_e32 v64, v2, v36
	v_add_f16_e32 v7, v7, v8
	v_mul_f16_e32 v12, 0xb5c8, v57
	v_pk_mul_f16 v74, 0xb5c8b964, v37 op_sel_hi:[1,0]
	v_fma_f16 v8, v61, 0x2de8, -v13
	v_pk_mul_f16 v72, 0xbb29bbf7, v37 op_sel_hi:[1,0]
	v_add_f16_e32 v7, v7, v11
	v_fma_f16 v11, v64, 0x3b76, -v12
	v_pk_fma_f16 v50, 0x3b7639e9, v58, v74 op_sel_hi:[1,0,1] neg_lo:[0,0,1] neg_hi:[0,0,1]
	v_pk_mul_f16 v79, 0xb964bbf7, v40 op_sel_hi:[1,0]
	v_pk_mul_f16 v71, 0xba62b1e1, v40 op_sel_hi:[1,0]
	v_add_f16_e32 v7, v7, v8
	v_pk_fma_f16 v8, 0x37222de8, v58, v72 op_sel_hi:[1,0,1] neg_lo:[0,0,1] neg_hi:[0,0,1]
	v_pk_add_f16 v50, v34, v50 op_sel:[1,0]
	v_pk_mul_f16 v80, 0xbb29ba62, v45 op_sel_hi:[1,0]
	v_pk_fma_f16 v52, 0xb8d2bbdd, v59, v71 op_sel_hi:[1,0,1] neg_lo:[0,0,1] neg_hi:[0,0,1]
	v_add_f16_e32 v11, v7, v11
	v_pk_fma_f16 v7, 0x39e92de8, v59, v79 op_sel_hi:[1,0,1] neg_lo:[0,0,1] neg_hi:[0,0,1]
	v_pk_add_f16 v8, v34, v8 op_sel:[1,0]
	v_pk_mul_f16 v70, 0x31e13bb2, v45 op_sel_hi:[1,0]
	v_pk_mul_f16 v81, 0xbbf7b1e1, v48 op_sel_hi:[1,0]
	;; [unrolled: 1-line block ×3, first 2 shown]
	v_pk_add_f16 v7, v50, v7
	v_pk_fma_f16 v50, 0x3722b8d2, v49, v80 op_sel_hi:[1,0,1] neg_lo:[0,0,1] neg_hi:[0,0,1]
	v_pk_add_f16 v8, v8, v52
	v_pk_fma_f16 v52, 0xbbddb461, v49, v70 op_sel_hi:[1,0,1] neg_lo:[0,0,1] neg_hi:[0,0,1]
	v_pk_mul_f16 v78, 0xbbb23836, v51 op_sel_hi:[1,0]
	v_pk_mul_f16 v68, 0x3964bb29, v51 op_sel_hi:[1,0]
	v_pk_add_f16 v7, v7, v50
	v_pk_fma_f16 v50, 0x2de8bbdd, v53, v81 op_sel_hi:[1,0,1] neg_lo:[0,0,1] neg_hi:[0,0,1]
	v_pk_add_f16 v8, v8, v52
	v_pk_fma_f16 v52, 0xb4613b76, v53, v69 op_sel_hi:[1,0,1] neg_lo:[0,0,1] neg_hi:[0,0,1]
	v_pk_mul_f16 v77, 0xba623bb2, v54 op_sel_hi:[1,0]
	v_pk_mul_f16 v67, 0xb5c8b836, v54 op_sel_hi:[1,0]
	v_pk_add_f16 v7, v7, v50
	v_pk_fma_f16 v50, 0xb461bacd, v56, v78 op_sel_hi:[1,0,1] neg_lo:[0,0,1] neg_hi:[0,0,1]
	v_pk_add_f16 v8, v8, v52
	v_pk_fma_f16 v52, 0x39e93722, v56, v68 op_sel_hi:[1,0,1] neg_lo:[0,0,1] neg_hi:[0,0,1]
	v_sub_f16_e32 v65, v21, v20
	v_pk_mul_f16 v75, 0xb8363b29, v57 op_sel_hi:[1,0]
	v_pk_add_f16 v7, v7, v50
	v_pk_fma_f16 v50, 0xb8d2b461, v61, v77 op_sel_hi:[1,0,1] neg_lo:[0,0,1] neg_hi:[0,0,1]
	v_pk_add_f16 v8, v8, v52
	v_pk_fma_f16 v52, 0x3b76bacd, v61, v67 op_sel_hi:[1,0,1] neg_lo:[0,0,1] neg_hi:[0,0,1]
	v_pk_mul_f16 v60, 0xbbf73a62, v57 op_sel_hi:[1,0]
	v_add_f16_e32 v66, v35, v34
	v_pk_add_f16 v7, v7, v50
	v_pk_fma_f16 v82, 0xbacd3722, v64, v75 op_sel_hi:[1,0,1] neg_lo:[0,0,1] neg_hi:[0,0,1]
	v_pk_mul_f16 v76, 0xb1e135c8, v65 op_sel_hi:[1,0]
	v_pk_add_f16 v8, v8, v52
	v_pk_fma_f16 v83, 0x2de8b8d2, v64, v60 op_sel_hi:[1,0,1] neg_lo:[0,0,1] neg_hi:[0,0,1]
	v_pk_mul_f16 v50, 0xb8363964, v65 op_sel_hi:[1,0]
	v_mul_f16_e32 v52, 0xba62, v65
	v_cmp_eq_u32_e64 s0, 1, v6
	v_pk_add_f16 v7, v7, v82
	v_pk_fma_f16 v82, 0xbbdd3b76, v66, v76 op_sel_hi:[1,0,1] neg_lo:[0,0,1] neg_hi:[0,0,1]
	v_pk_add_f16 v8, v8, v83
	v_pk_fma_f16 v83, 0xbacd39e9, v66, v50 op_sel_hi:[1,0,1] neg_lo:[0,0,1] neg_hi:[0,0,1]
	v_fma_f16 v84, v66, 0xb8d2, -v52
	s_wait_alu 0xf1ff
	v_cndmask_b32_e64 v85, 0, 0x52e, s0
	v_pk_add_f16 v7, v7, v82
	v_cmp_gt_u32_e64 s1, 0x4e, v10
	v_pk_add_f16 v6, v8, v83
	v_add_f16_e32 v11, v11, v84
	v_lshlrev_b32_e32 v8, 1, v85
	s_delay_alu instid0(VALU_DEP_4)
	s_and_saveexec_b32 s0, s1
	s_cbranch_execz .LBB0_15
; %bb.14:
	v_mul_f16_e32 v82, 0xbbdd, v58
	v_pack_b32_f16 v83, v58, v58
	v_pack_b32_f16 v84, v37, v37
	v_mul_f16_e32 v86, 0x3b76, v59
	v_pack_b32_f16 v85, v59, v59
	v_fmamk_f16 v87, v37, 0xb1e1, v82
	v_pk_mul_f16 v100, 0xbacdb8d2, v83
	v_pk_mul_f16 v101, 0xb836ba62, v84
	v_pack_b32_f16 v88, v40, v40
	v_mul_f16_e32 v90, 0xbacd, v49
	v_fmamk_f16 v91, v40, 0x35c8, v86
	v_add_f16_e32 v87, v73, v87
	v_sub_f16_e32 v104, v100, v101
	v_pack_b32_f16 v89, v49, v49
	v_pack_b32_f16 v92, v45, v45
	v_mul_f16_e32 v94, 0x39e9, v53
	v_fmamk_f16 v95, v45, 0xb836, v90
	v_add_f16_e32 v87, v87, v91
	v_pk_mul_f16 v102, 0x3722b461, v85
	v_pk_mul_f16 v103, 0x3b293bb2, v88
	v_add_f16_e32 v104, v73, v104
	v_add_f16_e32 v73, v73, v33
	v_pack_b32_f16 v93, v53, v53
	v_pack_b32_f16 v91, v48, v48
	v_mul_f16_e32 v96, 0xb8d2, v56
	v_fmamk_f16 v98, v48, 0x3964, v94
	v_add_f16_e32 v87, v87, v95
	v_pk_mul_f16 v105, 0x2de83b76, v89
	v_sub_f16_e32 v106, v102, v103
	v_pk_mul_f16 v107, 0xbbf7b5c8, v92
	v_add_f16_e32 v73, v73, v32
	v_mul_f16_e32 v97, 0x3722, v61
	v_fmamk_f16 v99, v51, 0xba62, v96
	v_add_f16_e32 v87, v87, v98
	v_pk_mul_f16 v108, 0xb8d2bacd, v93
	v_add_f16_e32 v104, v104, v106
	v_sub_f16_e32 v106, v105, v107
	v_pk_mul_f16 v109, 0x3a62b836, v91
	v_pack_b32_f16 v110, v56, v56
	v_pack_b32_f16 v111, v51, v51
	v_add_f16_e32 v73, v73, v31
	v_mul_f16_e32 v95, 0xb461, v64
	v_add_f16_e32 v87, v87, v99
	v_fmamk_f16 v99, v54, 0x3b29, v97
	v_add_f16_e32 v104, v104, v106
	v_sub_f16_e32 v106, v108, v109
	v_pk_mul_f16 v112, 0x3b762de8, v110
	v_pk_mul_f16 v113, 0xb5c83bf7, v111
	v_pack_b32_f16 v114, v61, v61
	v_pack_b32_f16 v115, v54, v54
	v_add_f16_e32 v73, v73, v30
	v_mul_f16_e32 v98, 0x2de8, v66
	v_add_f16_e32 v87, v87, v99
	v_fmamk_f16 v99, v57, 0xbbb2, v95
	v_add_f16_e32 v104, v104, v106
	v_sub_f16_e32 v106, v112, v113
	v_pk_mul_f16 v116, 0xbbdd39e9, v114
	v_pk_mul_f16 v117, 0xb1e1b964, v115
	v_add_f16_e32 v73, v73, v29
	v_add_f16_e32 v87, v87, v99
	v_fmamk_f16 v99, v65, 0x3bf7, v98
	v_add_f16_e32 v104, v104, v106
	v_sub_f16_e32 v106, v116, v117
	v_pack_b32_f16 v118, v64, v64
	v_pack_b32_f16 v119, v57, v57
	v_add_f16_e32 v73, v73, v3
	v_add_f16_e32 v87, v87, v99
	;; [unrolled: 1-line block ×3, first 2 shown]
	v_pk_mul_f16 v104, 0x39e9bbdd, v118
	v_pk_mul_f16 v106, 0x3964b1e1, v119
	v_add_f16_e32 v73, v73, v2
	v_pk_mul_f16 v122, 0x3b7639e9, v58 op_sel_hi:[1,0]
	v_pk_mul_f16 v85, 0xb8d22de8, v85
	v_perm_b32 v63, v63, v72, 0x5040100
	v_sub_f16_e32 v123, v104, v106
	v_bfi_b32 v73, 0xffff, v73, v74
	v_bfi_b32 v74, 0xffff, v35, v122
	v_pk_mul_f16 v122, 0x39e92de8, v59 op_sel_hi:[1,0]
	v_mul_f16_e32 v72, 0xbacd, v59
	v_add_f16_e32 v99, v99, v123
	v_pk_mul_f16 v123, 0x3722b8d2, v49 op_sel_hi:[1,0]
	v_pk_add_f16 v73, v73, v74
	v_pk_add_f16 v74, v79, v122
	v_pk_mul_f16 v79, 0x2de8bbdd, v53 op_sel_hi:[1,0]
	v_pk_mul_f16 v122, 0xb461bacd, v56 op_sel_hi:[1,0]
	v_pk_add_f16 v80, v80, v123
	v_pk_add_f16 v73, v73, v34
	v_bfi_b32 v74, 0xffff, v36, v74
	v_pk_add_f16 v79, v81, v79
	v_pk_mul_f16 v81, 0x372239e9, v83
	v_pk_mul_f16 v83, 0xb8d2b461, v61 op_sel_hi:[1,0]
	v_pk_add_f16 v78, v78, v122
	v_pk_add_f16 v73, v74, v73
	v_bfi_b32 v74, 0xffff, v38, v80
	v_pk_fma_f16 v80, 0xbb29b964, v84, v81
	v_perm_b32 v81, v34, v34, 0x7060302
	v_pk_add_f16 v77, v77, v83
	v_pk_mul_f16 v83, 0xbbddb8d2, v89
	v_pk_add_f16 v73, v74, v73
	v_bfi_b32 v74, 0xffff, v39, v79
	v_pk_add_f16 v79, v81, v80
	v_pk_fma_f16 v80, 0xba62bbf7, v88, v85
	v_pk_mul_f16 v85, 0xbacd3722, v64 op_sel_hi:[1,0]
	v_pk_mul_f16 v59, 0xb8d2bbdd, v59 op_sel_hi:[1,0]
	v_pk_add_f16 v73, v74, v73
	v_bfi_b32 v74, 0xffff, v41, v78
	v_pk_add_f16 v78, v79, v80
	v_pk_fma_f16 v79, 0x31e1ba62, v92, v83
	v_pk_mul_f16 v80, 0xb461bbdd, v93
	v_pk_add_f16 v75, v75, v85
	v_pk_add_f16 v73, v74, v73
	v_bfi_b32 v74, 0xffff, v42, v77
	v_pk_add_f16 v77, v78, v79
	v_pk_fma_f16 v78, 0x3bb2b1e1, v91, v80
	v_perm_b32 v62, v62, v71, 0x5040100
	v_perm_b32 v59, v72, v59, 0x5040100
	v_pk_add_f16 v73, v74, v73
	v_pk_mul_f16 v71, 0x3b76b461, v114
	v_pk_add_f16 v74, v77, v78
	v_mul_f16_e32 v77, 0xb461, v58
	v_pk_mul_f16 v58, 0x37222de8, v58 op_sel_hi:[1,0]
	v_pk_mul_f16 v78, 0x39e9bacd, v110
	v_pk_add_f16 v59, v62, v59
	v_mul_f16_e32 v62, 0x39e9, v49
	v_pk_mul_f16 v49, 0xbbddb461, v49 op_sel_hi:[1,0]
	v_perm_b32 v58, v77, v58, 0x5040100
	v_pk_fma_f16 v78, 0x39643836, v111, v78
	v_pk_fma_f16 v71, 0xb5c83bb2, v115, v71
	v_perm_b32 v55, v55, v70, 0x5040100
	v_perm_b32 v49, v62, v49, 0x5040100
	v_pk_add_f16 v58, v63, v58
	v_bfi_b32 v63, 0xffff, v43, v75
	v_pk_add_f16 v72, v74, v78
	v_perm_b32 v46, v46, v69, 0x5040100
	v_pk_add_f16 v49, v55, v49
	v_pk_add_f16 v58, v81, v58
	;; [unrolled: 1-line block ×3, first 2 shown]
	v_mul_f16_e32 v73, 0x3722, v53
	v_pk_mul_f16 v53, 0xb4613b76, v53 op_sel_hi:[1,0]
	v_pk_add_f16 v71, v72, v71
	v_mul_f16_e32 v72, 0xbbdd, v56
	v_pk_add_f16 v58, v58, v59
	v_pk_mul_f16 v56, 0x39e93722, v56 op_sel_hi:[1,0]
	v_perm_b32 v53, v73, v53, 0x5040100
	v_mul_f16_e32 v37, 0xb1e1, v37
	v_mul_f16_e32 v59, 0x2de8, v61
	v_pk_mul_f16 v61, 0x3b76bacd, v61 op_sel_hi:[1,0]
	v_pk_add_f16 v49, v58, v49
	v_pk_add_f16 v46, v46, v53
	v_perm_b32 v47, v47, v68, 0x5040100
	v_perm_b32 v53, v72, v56, 0x5040100
	v_mul_f16_e32 v40, 0x35c8, v40
	v_bfi_b32 v58, 0xffff, v82, v100
	v_bfi_b32 v37, 0xffff, v37, v101
	v_pk_add_f16 v46, v49, v46
	v_pk_add_f16 v47, v47, v53
	v_perm_b32 v13, v13, v67, 0x5040100
	v_perm_b32 v49, v59, v61, 0x5040100
	v_mul_f16_e32 v45, 0xb836, v45
	v_pk_add_f16 v37, v58, v37 neg_lo:[0,1] neg_hi:[0,1]
	v_bfi_b32 v53, 0xffff, v86, v102
	v_bfi_b32 v40, 0xffff, v40, v103
	v_pk_add_f16 v46, v46, v47
	v_pk_add_f16 v13, v13, v49
	v_pk_fma_f16 v47, 0xb836ba62, v84, v100
	v_mul_f16_e32 v48, 0x3964, v48
	v_pk_add_f16 v37, v81, v37
	v_pk_add_f16 v40, v53, v40 neg_lo:[0,1] neg_hi:[0,1]
	v_bfi_b32 v49, 0xffff, v90, v105
	v_bfi_b32 v45, 0xffff, v45, v107
	v_pk_add_f16 v13, v46, v13
	v_pk_add_f16 v46, v81, v47
	v_pk_fma_f16 v47, 0x3b293bb2, v88, v102
	v_mul_f16_e32 v51, 0xba62, v51
	v_pk_add_f16 v37, v37, v40
	v_pk_add_f16 v40, v49, v45 neg_lo:[0,1] neg_hi:[0,1]
	v_bfi_b32 v45, 0xffff, v94, v108
	v_bfi_b32 v48, 0xffff, v48, v109
	v_pk_add_f16 v46, v46, v47
	v_pk_fma_f16 v47, 0xbbf7b5c8, v92, v105
	v_mul_f16_e32 v54, 0x3b29, v54
	v_pk_add_f16 v37, v37, v40
	v_pk_add_f16 v40, v45, v48 neg_lo:[0,1] neg_hi:[0,1]
	v_bfi_b32 v45, 0xffff, v96, v112
	v_bfi_b32 v48, 0xffff, v51, v113
	v_pk_add_f16 v46, v46, v47
	v_pk_fma_f16 v47, 0x3a62b836, v91, v108
	v_pack_b32_f16 v120, v66, v66
	v_pack_b32_f16 v121, v65, v65
	v_mul_f16_e32 v57, 0xbbb2, v57
	v_pk_add_f16 v37, v37, v40
	v_pk_add_f16 v40, v45, v48 neg_lo:[0,1] neg_hi:[0,1]
	v_bfi_b32 v45, 0xffff, v97, v116
	v_bfi_b32 v48, 0xffff, v54, v117
	v_mul_f16_e32 v70, 0x3b76, v64
	v_pk_mul_f16 v64, 0x2de8b8d2, v64 op_sel_hi:[1,0]
	v_pk_add_f16 v46, v46, v47
	v_pk_fma_f16 v47, 0xb5c83bf7, v111, v112
	v_pk_mul_f16 v124, 0xb4613722, v120
	v_pk_mul_f16 v125, 0xbbb23b29, v121
	v_mul_f16_e32 v65, 0x3bf7, v65
	v_pk_add_f16 v37, v37, v40
	v_pk_add_f16 v40, v45, v48 neg_lo:[0,1] neg_hi:[0,1]
	v_bfi_b32 v45, 0xffff, v95, v104
	v_bfi_b32 v48, 0xffff, v57, v106
	v_pk_mul_f16 v83, 0xbbdd3b76, v66 op_sel_hi:[1,0]
	v_pk_mul_f16 v62, 0xbacd39e9, v66 op_sel_hi:[1,0]
	v_mul_f16_e32 v66, 0xb8d2, v66
	v_pk_mul_f16 v74, 0x2de83722, v118
	v_perm_b32 v12, v12, v60, 0x5040100
	v_perm_b32 v49, v70, v64, 0x5040100
	v_pk_add_f16 v46, v46, v47
	v_pk_fma_f16 v47, 0xb1e1b964, v115, v116
	v_pk_add_f16 v37, v37, v40
	v_pk_add_f16 v40, v45, v48 neg_lo:[0,1] neg_hi:[0,1]
	v_bfi_b32 v45, 0xffff, v98, v124
	v_bfi_b32 v48, 0xffff, v65, v125
	v_pk_add_f16 v76, v76, v83
	v_pk_fma_f16 v74, 0xbbf73b29, v119, v74
	v_pk_mul_f16 v73, 0xbacd3b76, v120
	v_pk_add_f16 v12, v12, v49
	v_perm_b32 v49, v52, v50, 0x5040100
	v_perm_b32 v50, v66, v62, 0x5040100
	v_pk_add_f16 v46, v46, v47
	v_pk_fma_f16 v47, 0x3964b1e1, v119, v104
	v_sub_f16_e32 v126, v124, v125
	v_pk_add_f16 v37, v37, v40
	v_pk_add_f16 v40, v45, v48 neg_lo:[0,1] neg_hi:[0,1]
	v_mul_u32_u24_e32 v55, 34, v10
	v_bfi_b32 v69, 0xffff, v44, v76
	v_pk_add_f16 v71, v71, v74
	v_pk_fma_f16 v56, 0xb83635c8, v121, v73
	v_pk_add_f16 v12, v13, v12
	v_pk_add_f16 v13, v49, v50
	;; [unrolled: 1-line block ×3, first 2 shown]
	v_pk_fma_f16 v49, 0xbbb23b29, v121, v124
	v_add_f16_e32 v79, v99, v126
	v_pk_add_f16 v37, v37, v40
	v_add3_u32 v55, 0, v55, v8
	v_pk_add_f16 v45, v69, v63
	v_pk_add_f16 v46, v71, v56
	;; [unrolled: 1-line block ×4, first 2 shown]
	v_alignbit_b32 v13, v79, v37, 16
	v_pack_b32_f16 v12, v87, v37
	ds_store_b128 v55, v[45:48]
	ds_store_b64 v55, v[12:13] offset:16
	ds_store_b16 v55, v11 offset:24
	ds_store_b64 v55, v[6:7] offset:26
.LBB0_15:
	s_wait_alu 0xfffe
	s_or_b32 exec_lo, exec_lo, s0
	v_lshlrev_b32_e32 v12, 1, v10
	global_wb scope:SCOPE_SE
	s_wait_dscnt 0x0
	s_barrier_signal -1
	s_barrier_wait -1
	global_inv scope:SCOPE_SE
	v_add_nc_u32_e32 v56, 0, v12
	v_add3_u32 v13, 0, v8, v12
	v_cmp_gt_u32_e64 s0, 17, v10
                                        ; implicit-def: $vgpr48
	s_delay_alu instid0(VALU_DEP_3)
	v_add_nc_u32_e32 v12, v56, v8
	ds_load_u16 v37, v13
	ds_load_u16 v51, v12 offset:1768
	ds_load_u16 v45, v12 offset:1530
	ds_load_u16 v52, v12 offset:1326
	ds_load_u16 v46, v12 offset:1088
	ds_load_u16 v53, v12 offset:884
	ds_load_u16 v49, v12 offset:646
	ds_load_u16 v55, v12 offset:442
	ds_load_u16 v40, v12 offset:204
	ds_load_u16 v47, v12 offset:2414
	ds_load_u16 v54, v12 offset:2210
	ds_load_u16 v50, v12 offset:1972
	s_and_saveexec_b32 s2, s0
	s_cbranch_execz .LBB0_17
; %bb.16:
	ds_load_u16 v6, v12 offset:850
	ds_load_u16 v7, v12 offset:1734
	;; [unrolled: 1-line block ×4, first 2 shown]
	s_wait_dscnt 0x3
	ds_load_u16_d16_hi v6, v12 offset:1292
	s_wait_dscnt 0x3
	ds_load_u16_d16_hi v7, v12 offset:2176
.LBB0_17:
	s_wait_alu 0xfffe
	s_or_b32 exec_lo, exec_lo, s2
	v_sub_f16_e32 v72, v33, v44
	v_add_f16_e32 v61, v28, v0
	v_sub_f16_e32 v70, v32, v43
	v_add_f16_e32 v44, v27, v1
	v_sub_f16_e32 v74, v31, v42
	v_pk_mul_f16 v63, 0xb5c8b964, v72 op_sel_hi:[1,0]
	v_sub_f16_e32 v73, v30, v41
	v_pk_mul_f16 v64, 0xb964bbf7, v70 op_sel_hi:[1,0]
	v_add_f16_e32 v43, v26, v14
	v_sub_f16_e32 v75, v29, v39
	v_pk_fma_f16 v30, 0x3b7639e9, v61, v63 op_sel_hi:[1,0,1]
	v_pk_mul_f16 v42, 0xbb29ba62, v74 op_sel_hi:[1,0]
	v_pk_fma_f16 v29, 0x39e92de8, v44, v64 op_sel_hi:[1,0,1]
	v_add_f16_e32 v62, v25, v15
	v_sub_f16_e32 v76, v3, v38
	v_pk_add_f16 v30, v18, v30 op_sel_hi:[0,1]
	v_pk_mul_f16 v57, 0xbbf7b1e1, v73 op_sel_hi:[1,0]
	v_pk_fma_f16 v3, 0x3722b8d2, v43, v42 op_sel_hi:[1,0,1]
	v_add_f16_e32 v41, v24, v16
	v_sub_f16_e32 v79, v2, v36
	v_pk_add_f16 v29, v30, v29
	v_pk_mul_f16 v58, 0xbbb23836, v75 op_sel_hi:[1,0]
	v_pk_fma_f16 v2, 0x2de8bbdd, v62, v57 op_sel_hi:[1,0,1]
	v_add_f16_e32 v39, v23, v17
	v_pk_mul_f16 v60, 0xba623bb2, v76 op_sel_hi:[1,0]
	v_pk_add_f16 v3, v29, v3
	v_pk_fma_f16 v29, 0xb461bacd, v41, v58 op_sel_hi:[1,0,1]
	v_add_f16_e32 v38, v22, v19
	v_pk_mul_f16 v59, 0xb8363b29, v79 op_sel_hi:[1,0]
	v_pk_mul_f16 v69, 0xbb29bbf7, v72 op_sel_hi:[1,0]
	v_pk_add_f16 v2, v3, v2
	v_pk_fma_f16 v3, 0xb8d2b461, v39, v60 op_sel_hi:[1,0,1]
	v_pk_mul_f16 v67, 0xba62bbb2, v72 op_sel_hi:[1,0]
	v_pk_mul_f16 v68, 0xba62b1e1, v70 op_sel_hi:[1,0]
	v_pk_fma_f16 v30, 0x37222de8, v61, v69 op_sel_hi:[1,0,1]
	v_pk_add_f16 v2, v2, v29
	v_pk_fma_f16 v29, 0xbacd3722, v38, v59 op_sel_hi:[1,0,1]
	v_pk_mul_f16 v66, 0x3bb23836, v70 op_sel_hi:[1,0]
	v_pk_fma_f16 v31, 0xb8d2bbdd, v44, v68 op_sel_hi:[1,0,1]
	v_pk_add_f16 v30, v18, v30 op_sel_hi:[0,1]
	v_pk_add_f16 v2, v2, v3
	v_pk_fma_f16 v3, 0xb8d2b461, v61, v67 op_sel_hi:[1,0,1]
	v_pk_mul_f16 v81, 0x31e13bb2, v74 op_sel_hi:[1,0]
	v_pk_mul_f16 v65, 0xb5c83964, v74 op_sel_hi:[1,0]
	v_sub_f16_e32 v80, v35, v34
	v_pk_add_f16 v2, v2, v29
	v_pk_add_f16 v3, v18, v3 op_sel_hi:[0,1]
	v_pk_fma_f16 v29, 0xb461bacd, v44, v66 op_sel_hi:[1,0,1]
	v_pk_add_f16 v30, v30, v31
	v_pk_fma_f16 v31, 0xbbddb461, v43, v81 op_sel_hi:[1,0,1]
	v_pk_mul_f16 v82, 0x3bb235c8, v73 op_sel_hi:[1,0]
	v_pk_mul_f16 v35, 0xb836bb29, v73 op_sel_hi:[1,0]
	v_pk_add_f16 v3, v3, v29
	v_pk_fma_f16 v29, 0x3b7639e9, v43, v65 op_sel_hi:[1,0,1]
	v_pk_add_f16 v30, v30, v31
	v_pk_fma_f16 v31, 0xb4613b76, v62, v82 op_sel_hi:[1,0,1]
	v_pk_mul_f16 v83, 0x3964bb29, v75 op_sel_hi:[1,0]
	v_pk_mul_f16 v33, 0x3bf7b1e1, v75 op_sel_hi:[1,0]
	v_pk_add_f16 v3, v3, v29
	;; [unrolled: 6-line block ×4, first 2 shown]
	v_pk_fma_f16 v29, 0x39e92de8, v39, v32 op_sel_hi:[1,0,1]
	v_add_f16_e32 v36, v21, v20
	v_pk_mul_f16 v34, 0xb1e135c8, v80 op_sel_hi:[1,0]
	v_pk_add_f16 v84, v30, v71
	v_pk_fma_f16 v85, 0x2de8b8d2, v38, v78 op_sel_hi:[1,0,1]
	v_pk_mul_f16 v71, 0xb8363964, v80 op_sel_hi:[1,0]
	v_pk_add_f16 v3, v3, v29
	v_pk_fma_f16 v29, 0xbbdd3b76, v38, v31 op_sel_hi:[1,0,1]
	v_pk_mul_f16 v30, 0x3b29ba62, v80 op_sel_hi:[1,0]
	v_pk_fma_f16 v86, 0xbbdd3b76, v36, v34 op_sel_hi:[1,0,1]
	v_pk_add_f16 v84, v84, v85
	v_pk_fma_f16 v85, 0xbacd39e9, v36, v71 op_sel_hi:[1,0,1]
	v_pk_add_f16 v29, v3, v29
	;; [unrolled: 2-line block ×3, first 2 shown]
	global_wb scope:SCOPE_SE
	s_wait_dscnt 0x0
	v_pk_add_f16 v2, v84, v85
	s_barrier_signal -1
	v_pk_add_f16 v29, v29, v87
	s_barrier_wait -1
	global_inv scope:SCOPE_SE
	s_and_saveexec_b32 s2, s1
	s_cbranch_execz .LBB0_19
; %bb.18:
	v_add_f16_e32 v28, v18, v28
	v_pk_mul_f16 v85, 0x3b7639e9, v61 op_sel_hi:[1,0]
	v_perm_b32 v18, v18, v18, 0x5040100
	v_pk_mul_f16 v86, 0x39e92de8, v44 op_sel_hi:[1,0]
	v_pack_b32_f16 v87, v43, v43
	v_add_f16_e32 v27, v28, v27
	v_pk_add_f16 v63, v85, v63 neg_lo:[0,1] neg_hi:[0,1]
	v_pk_mul_f16 v96, 0xbbddb461, v43 op_sel_hi:[1,0]
	v_pk_mul_f16 v89, 0x2de8bbdd, v62 op_sel_hi:[1,0]
	v_pk_mul_f16 v95, 0xb8d2bbdd, v44 op_sel_hi:[1,0]
	v_add_f16_e32 v26, v27, v26
	v_pk_mul_f16 v27, 0x3722b8d2, v43 op_sel_hi:[1,0]
	v_pk_add_f16 v63, v18, v63
	v_pk_mul_f16 v90, 0xb461bacd, v41 op_sel_hi:[1,0]
	v_pk_mul_f16 v91, 0xb8d2b461, v39 op_sel_hi:[1,0]
	v_add_f16_e32 v25, v26, v25
	v_pk_add_f16 v27, v27, v42 neg_lo:[0,1] neg_hi:[0,1]
	v_pk_mul_f16 v97, 0x39e93722, v41 op_sel_hi:[1,0]
	v_pack_b32_f16 v84, v61, v61
	v_pk_mul_f16 v94, 0xbbdd3b76, v36 op_sel_hi:[1,0]
	v_add_f16_e32 v24, v25, v24
	v_pk_mul_f16 v98, 0x3b76bacd, v39 op_sel_hi:[1,0]
	v_pack_b32_f16 v72, v72, v72
	v_pack_b32_f16 v28, v44, v44
	v_pk_mul_f16 v99, 0x2de8b8d2, v38 op_sel_hi:[1,0]
	v_add_f16_e32 v23, v24, v23
	v_pk_mul_f16 v24, 0xbacd3722, v38 op_sel_hi:[1,0]
	v_pk_mul_f16 v44, 0xb461bacd, v44 op_sel_hi:[1,0]
	v_pack_b32_f16 v70, v70, v70
	v_pack_b32_f16 v74, v74, v74
	v_add_f16_e32 v22, v23, v22
	v_pack_b32_f16 v23, v80, v80
	v_pk_mul_f16 v80, 0x37222de8, v61 op_sel_hi:[1,0]
	v_pk_mul_f16 v61, 0xb8d2b461, v61 op_sel_hi:[1,0]
	v_pack_b32_f16 v88, v62, v62
	v_add_f16_e32 v21, v22, v21
	v_pk_mul_f16 v22, 0xb4613b76, v62 op_sel_hi:[1,0]
	v_pk_mul_f16 v62, 0xbacd3722, v62 op_sel_hi:[1,0]
	v_pack_b32_f16 v26, v73, v73
	v_pack_b32_f16 v75, v75, v75
	v_add_f16_e32 v20, v21, v20
	v_pk_mul_f16 v21, 0xbacd39e9, v36 op_sel_hi:[1,0]
	v_pack_b32_f16 v73, v41, v41
	v_pack_b32_f16 v76, v76, v76
	v_pk_mul_f16 v41, 0x2de8bbdd, v41 op_sel_hi:[1,0]
	v_add_f16_e32 v19, v19, v20
	v_pk_mul_f16 v20, 0x3b7639e9, v43 op_sel_hi:[1,0]
	v_pk_add_f16 v43, v86, v64 neg_lo:[0,1] neg_hi:[0,1]
	v_pack_b32_f16 v25, v39, v39
	v_pack_b32_f16 v79, v79, v79
	v_add_f16_e32 v17, v17, v19
	v_pk_add_f16 v19, v80, v69 neg_lo:[0,1] neg_hi:[0,1]
	v_pk_add_f16 v42, v63, v43
	v_pk_mul_f16 v39, 0x39e92de8, v39 op_sel_hi:[1,0]
	v_pack_b32_f16 v92, v38, v38
	v_add_f16_e32 v16, v16, v17
	v_pk_add_f16 v17, v18, v19
	v_pk_add_f16 v19, v95, v68 neg_lo:[0,1] neg_hi:[0,1]
	v_pk_add_f16 v27, v42, v27
	v_pk_add_f16 v42, v89, v57 neg_lo:[0,1] neg_hi:[0,1]
	v_add_f16_e32 v15, v15, v16
	v_pk_mul_f16 v38, 0xbbdd3b76, v38 op_sel_hi:[1,0]
	v_pk_add_f16 v16, v17, v19
	v_pk_add_f16 v17, v96, v81 neg_lo:[0,1] neg_hi:[0,1]
	v_pk_add_f16 v19, v27, v42
	v_pk_add_f16 v27, v90, v58 neg_lo:[0,1] neg_hi:[0,1]
	v_add_f16_e32 v14, v14, v15
	v_pack_b32_f16 v93, v36, v36
	v_pk_add_f16 v15, v16, v17
	v_pk_add_f16 v16, v22, v82 neg_lo:[0,1] neg_hi:[0,1]
	v_pk_add_f16 v17, v19, v27
	v_pk_add_f16 v19, v91, v60 neg_lo:[0,1] neg_hi:[0,1]
	v_add_f16_e32 v1, v1, v14
	v_pk_mul_f16 v27, 0xb836bbf7, v74
	v_pk_add_f16 v14, v15, v16
	v_pk_add_f16 v15, v97, v83 neg_lo:[0,1] neg_hi:[0,1]
	v_pk_add_f16 v16, v17, v19
	v_pk_add_f16 v17, v24, v59 neg_lo:[0,1] neg_hi:[0,1]
	v_add_f16_e32 v19, v0, v1
	v_pk_add_f16 v0, v61, v67 neg_lo:[0,1] neg_hi:[0,1]
	v_pk_add_f16 v1, v14, v15
	v_pk_add_f16 v14, v98, v77 neg_lo:[0,1] neg_hi:[0,1]
	v_pk_add_f16 v15, v16, v17
	;; [unrolled: 2-line block ×5, first 2 shown]
	v_pk_mul_f16 v16, 0xb1e1b836, v72
	v_pk_add_f16 v0, v0, v17
	v_pk_add_f16 v17, v20, v65 neg_lo:[0,1] neg_hi:[0,1]
	v_pk_add_f16 v1, v1, v14
	v_pk_add_f16 v14, v21, v71 neg_lo:[0,1] neg_hi:[0,1]
	v_pk_fma_f16 v20, 0xbbddbacd, v84, v16 neg_lo:[0,0,1] neg_hi:[0,0,1]
	v_pk_mul_f16 v21, 0x35c83b29, v70
	v_pk_fma_f16 v16, 0xbbddbacd, v84, v16
	v_pk_add_f16 v0, v0, v17
	v_pk_add_f16 v17, v62, v35 neg_lo:[0,1] neg_hi:[0,1]
	v_pk_add_f16 v20, v18, v20
	v_pk_fma_f16 v24, 0x3b763722, v28, v21 neg_lo:[0,0,1] neg_hi:[0,0,1]
	v_pk_add_f16 v16, v18, v16
	v_pk_fma_f16 v18, 0x3b763722, v28, v21
	v_pk_add_f16 v0, v0, v17
	v_pk_mul_f16 v21, 0x39643a62, v26
	v_pk_add_f16 v17, v20, v24
	v_pk_fma_f16 v20, 0xbacd2de8, v87, v27 neg_lo:[0,0,1] neg_hi:[0,0,1]
	v_pk_add_f16 v16, v16, v18
	v_pk_fma_f16 v18, 0xbacd2de8, v87, v27
	v_pk_mul_f16 v26, 0xba62b5c8, v75
	v_pk_add_f16 v24, v41, v33 neg_lo:[0,1] neg_hi:[0,1]
	v_pk_add_f16 v17, v17, v20
	v_pk_fma_f16 v20, 0x39e9b8d2, v88, v21 neg_lo:[0,0,1] neg_hi:[0,0,1]
	v_pk_add_f16 v16, v16, v18
	v_pk_fma_f16 v18, 0x39e9b8d2, v88, v21
	v_pk_mul_f16 v21, 0x3b29b1e1, v76
	v_pk_add_f16 v0, v0, v24
	v_pk_add_f16 v17, v17, v20
	v_pk_fma_f16 v20, 0xb8d23b76, v73, v26 neg_lo:[0,0,1] neg_hi:[0,0,1]
	v_pk_add_f16 v16, v16, v18
	v_pk_fma_f16 v18, 0xb8d23b76, v73, v26
	v_pk_add_f16 v24, v39, v32 neg_lo:[0,1] neg_hi:[0,1]
	v_pk_mul_f16 v26, 0xbbb23964, v79
	v_pk_add_f16 v17, v17, v20
	v_pk_fma_f16 v20, 0x3722bbdd, v25, v21 neg_lo:[0,0,1] neg_hi:[0,0,1]
	v_pk_add_f16 v16, v16, v18
	v_pk_fma_f16 v18, 0x3722bbdd, v25, v21
	v_pk_mul_f16 v22, 0x3722b8d2, v36 op_sel_hi:[1,0]
	v_pk_add_f16 v0, v0, v24
	v_pk_add_f16 v21, v38, v31 neg_lo:[0,1] neg_hi:[0,1]
	v_pk_add_f16 v17, v17, v20
	v_pk_fma_f16 v20, 0xb46139e9, v92, v26 neg_lo:[0,0,1] neg_hi:[0,0,1]
	v_pk_add_f16 v16, v16, v18
	v_pk_fma_f16 v18, 0xb46139e9, v92, v26
	v_pk_mul_f16 v23, 0x3bf7bbb2, v23
	v_pk_add_f16 v0, v0, v21
	v_pk_add_f16 v21, v22, v30 neg_lo:[0,1] neg_hi:[0,1]
	v_pk_add_f16 v17, v17, v20
	v_pk_add_f16 v18, v16, v18
	v_pk_fma_f16 v20, 0x2de8b461, v93, v23
	v_pk_fma_f16 v22, 0x2de8b461, v93, v23 neg_lo:[0,0,1] neg_hi:[0,0,1]
	v_lshlrev_b32_e32 v23, 5, v10
	v_pk_add_f16 v1, v1, v14
	v_pk_add_f16 v16, v0, v21
	;; [unrolled: 1-line block ×4, first 2 shown]
	v_add3_u32 v18, v56, v23, v8
	v_alignbit_b32 v14, v15, v15, 16
	v_alignbit_b32 v15, v1, v1, 16
	;; [unrolled: 1-line block ×4, first 2 shown]
	ds_store_b16 v18, v19
	ds_store_b128 v18, v[14:17] offset:2
	ds_store_b128 v18, v[0:3] offset:18
.LBB0_19:
	s_wait_alu 0xfffe
	s_or_b32 exec_lo, exec_lo, s2
	global_wb scope:SCOPE_SE
	s_wait_dscnt 0x0
	s_barrier_signal -1
	s_barrier_wait -1
	global_inv scope:SCOPE_SE
	ds_load_u16 v0, v13
	ds_load_u16 v21, v12 offset:1768
	ds_load_u16 v14, v12 offset:1530
	ds_load_u16 v22, v12 offset:1326
	ds_load_u16 v15, v12 offset:1088
	ds_load_u16 v23, v12 offset:884
	ds_load_u16 v18, v12 offset:646
	ds_load_u16 v25, v12 offset:442
	ds_load_u16 v1, v12 offset:204
	ds_load_u16 v16, v12 offset:2414
	ds_load_u16 v24, v12 offset:2210
	ds_load_u16 v19, v12 offset:1972
                                        ; implicit-def: $vgpr17
	s_and_saveexec_b32 s1, s0
	s_cbranch_execz .LBB0_21
; %bb.20:
	ds_load_u16 v2, v12 offset:850
	ds_load_u16 v3, v12 offset:1734
	;; [unrolled: 1-line block ×4, first 2 shown]
	s_wait_dscnt 0x3
	ds_load_u16_d16_hi v2, v12 offset:1292
	s_wait_dscnt 0x3
	ds_load_u16_d16_hi v3, v12 offset:2176
.LBB0_21:
	s_wait_alu 0xfffe
	s_or_b32 exec_lo, exec_lo, s1
	v_and_b32_e32 v20, 0xff, v10
	v_add_nc_u16 v26, v10, 0x66
	v_add_nc_u32_e32 v27, 0xcc, v10
	v_lshrrev_b32_e32 v67, 16, v7
	s_wait_dscnt 0x0
	v_lshrrev_b32_e32 v68, 16, v3
	v_mul_lo_u16 v20, 0xf1, v20
	v_and_b32_e32 v28, 0xff, v26
	v_and_b32_e32 v31, 0xffff, v27
	v_lshrrev_b32_e32 v65, 16, v6
	v_lshrrev_b32_e32 v66, 16, v2
	v_lshrrev_b16 v20, 12, v20
	v_mul_lo_u16 v28, 0xf1, v28
	v_mul_u32_u24_e32 v31, 0xf0f1, v31
	s_delay_alu instid0(VALU_DEP_3) | instskip(NEXT) | instid1(VALU_DEP_3)
	v_mul_lo_u16 v30, v20, 17
	v_lshrrev_b16 v28, 12, v28
	s_delay_alu instid0(VALU_DEP_3) | instskip(SKIP_1) | instid1(VALU_DEP_4)
	v_lshrrev_b32_e32 v31, 20, v31
	v_and_b32_e32 v20, 0xffff, v20
	v_sub_nc_u16 v30, v10, v30
	s_delay_alu instid0(VALU_DEP_4) | instskip(NEXT) | instid1(VALU_DEP_4)
	v_mul_lo_u16 v32, v28, 17
	v_mul_lo_u16 v31, v31, 17
	v_and_b32_e32 v28, 0xffff, v28
	v_mad_u32_u24 v20, 0xcc, v20, 0
	v_and_b32_e32 v30, 0xff, v30
	v_sub_nc_u16 v26, v26, v32
	v_sub_nc_u16 v27, v27, v31
	v_mad_u32_u24 v28, 0xcc, v28, 0
	s_delay_alu instid0(VALU_DEP_4) | instskip(NEXT) | instid1(VALU_DEP_4)
	v_mul_u32_u24_e32 v33, 5, v30
	v_and_b32_e32 v26, 0xff, v26
	s_delay_alu instid0(VALU_DEP_4) | instskip(SKIP_1) | instid1(VALU_DEP_4)
	v_and_b32_e32 v27, 0xffff, v27
	v_lshlrev_b32_e32 v30, 1, v30
	v_lshlrev_b32_e32 v36, 2, v33
	s_delay_alu instid0(VALU_DEP_4)
	v_mul_u32_u24_e32 v31, 5, v26
	s_clause 0x1
	global_load_b128 v[32:35], v36, s[4:5]
	global_load_b32 v38, v36, s[4:5] offset:16
	v_mul_u32_u24_e32 v36, 5, v27
	v_lshlrev_b32_e32 v31, 2, v31
	s_delay_alu instid0(VALU_DEP_2)
	v_lshlrev_b32_e32 v36, 2, v36
	s_clause 0x3
	global_load_b128 v[56:59], v31, s[4:5]
	global_load_b32 v44, v31, s[4:5] offset:16
	global_load_b128 v[60:63], v36, s[4:5]
	global_load_b32 v64, v36, s[4:5] offset:16
	v_lshlrev_b32_e32 v31, 1, v26
	v_add3_u32 v26, v20, v30, v8
	v_lshlrev_b32_e32 v20, 1, v27
	global_wb scope:SCOPE_SE
	s_wait_loadcnt 0x0
	s_barrier_signal -1
	v_add3_u32 v27, v28, v31, v8
	s_barrier_wait -1
	global_inv scope:SCOPE_SE
	v_lshrrev_b32_e32 v30, 16, v32
	v_lshrrev_b32_e32 v31, 16, v33
	;; [unrolled: 1-line block ×5, first 2 shown]
	v_mul_f16_e32 v28, v25, v30
	v_mul_f16_e32 v42, v55, v30
	;; [unrolled: 1-line block ×10, first 2 shown]
	v_lshrrev_b32_e32 v74, 16, v57
	v_lshrrev_b32_e32 v75, 16, v58
	;; [unrolled: 1-line block ×7, first 2 shown]
	v_fmac_f16_e32 v28, v55, v32
	v_fma_f16 v36, v25, v32, -v42
	v_fmac_f16_e32 v30, v53, v33
	v_fma_f16 v43, v23, v33, -v43
	;; [unrolled: 2-line block ×5, first 2 shown]
	v_mul_f16_e32 v24, v15, v74
	v_mul_f16_e32 v35, v46, v74
	;; [unrolled: 1-line block ×14, first 2 shown]
	v_fma_f16 v42, v15, v57, -v35
	v_fmac_f16_e32 v38, v45, v58
	v_fma_f16 v35, v14, v58, -v41
	v_fma_f16 v41, v19, v59, -v54
	;; [unrolled: 1-line block ×3, first 2 shown]
	v_fmac_f16_e32 v53, v7, v62
	v_fma_f16 v14, v3, v62, -v74
	v_fma_f16 v3, v17, v64, -v76
	v_add_f16_e32 v7, v37, v30
	v_add_f16_e32 v17, v30, v31
	;; [unrolled: 1-line block ×4, first 2 shown]
	v_lshrrev_b32_e32 v78, 16, v60
	v_lshrrev_b32_e32 v79, 16, v61
	v_fmac_f16_e32 v23, v49, v56
	v_fma_f16 v32, v18, v56, -v32
	v_fmac_f16_e32 v55, v47, v44
	v_add_f16_e32 v44, v69, v72
	v_sub_f16_e32 v49, v69, v72
	v_add_f16_e32 v7, v7, v31
	v_fmac_f16_e32 v37, -0.5, v17
	v_add_f16_e32 v17, v19, v72
	v_fma_f16 v45, -0.5, v45, v36
	v_add_f16_e32 v58, v35, v15
	v_lshrrev_b32_e32 v81, 16, v63
	v_mul_f16_e32 v51, v2, v78
	v_mul_f16_e32 v71, v6, v78
	;; [unrolled: 1-line block ×4, first 2 shown]
	v_fmac_f16_e32 v24, v46, v57
	v_fmac_f16_e32 v25, v50, v59
	v_fmac_f16_e32 v52, v48, v64
	v_sub_f16_e32 v46, v39, v34
	v_fmac_f16_e32 v28, -0.5, v44
	v_add_f16_e32 v54, v23, v38
	v_add_f16_e32 v56, v38, v55
	v_sub_f16_e32 v38, v38, v55
	v_fmamk_f16 v48, v49, 0x3aee, v45
	v_fmac_f16_e32 v45, 0xbaee, v49
	v_add_f16_e32 v49, v7, v17
	v_sub_f16_e32 v64, v7, v17
	v_fma_f16 v7, -0.5, v58, v32
	v_mul_f16_e32 v22, v68, v81
	v_mul_f16_e32 v75, v67, v81
	v_fmac_f16_e32 v51, v6, v60
	v_fma_f16 v6, v2, v60, -v71
	v_fmac_f16_e32 v21, v65, v61
	v_fma_f16 v16, v66, v61, -v73
	v_sub_f16_e32 v18, v43, v33
	v_add_f16_e32 v19, v40, v24
	v_add_f16_e32 v44, v24, v25
	v_sub_f16_e32 v57, v35, v15
	v_add_f16_e32 v59, v53, v52
	v_add_f16_e32 v61, v14, v3
	v_fmamk_f16 v47, v46, 0xbaee, v28
	v_fmac_f16_e32 v28, 0x3aee, v46
	v_fmac_f16_e32 v23, -0.5, v56
	v_fmamk_f16 v46, v38, 0x3aee, v7
	v_fmac_f16_e32 v7, 0xbaee, v38
	v_add_f16_e32 v54, v54, v55
	v_mul_f16_e32 v55, 0xbaee, v48
	v_mul_f16_e32 v56, 0xbaee, v45
	v_fmac_f16_e32 v22, v67, v63
	v_fma_f16 v2, v68, v63, -v75
	v_sub_f16_e32 v50, v42, v41
	v_sub_f16_e32 v60, v14, v3
	;; [unrolled: 1-line block ×3, first 2 shown]
	v_fmamk_f16 v63, v18, 0xbaee, v37
	v_fmac_f16_e32 v37, 0x3aee, v18
	v_add_f16_e32 v19, v19, v25
	v_fmac_f16_e32 v40, -0.5, v44
	v_fma_f16 v17, -0.5, v59, v51
	v_fma_f16 v18, -0.5, v61, v6
	v_fmamk_f16 v44, v57, 0xbaee, v23
	v_fmac_f16_e32 v23, 0x3aee, v57
	v_mul_f16_e32 v57, 0xbaee, v46
	v_mul_f16_e32 v59, 0xbaee, v7
	v_fmac_f16_e32 v55, 0.5, v47
	v_fmac_f16_e32 v56, -0.5, v28
	v_fmamk_f16 v58, v50, 0xbaee, v40
	v_fmac_f16_e32 v40, 0x3aee, v50
	v_add_f16_e32 v50, v19, v54
	v_sub_f16_e32 v54, v19, v54
	v_fmamk_f16 v19, v60, 0xbaee, v17
	v_fmac_f16_e32 v17, 0x3aee, v60
	v_fmamk_f16 v38, v62, 0x3aee, v18
	v_fmac_f16_e32 v18, 0xbaee, v62
	v_fmac_f16_e32 v57, 0.5, v44
	v_fmac_f16_e32 v59, -0.5, v23
	v_add_f16_e32 v60, v63, v55
	v_add_f16_e32 v61, v37, v56
	v_sub_f16_e32 v55, v63, v55
	v_sub_f16_e32 v37, v37, v56
	v_add_f16_e32 v56, v58, v57
	v_add_f16_e32 v62, v40, v59
	v_sub_f16_e32 v57, v58, v57
	v_sub_f16_e32 v40, v40, v59
	ds_store_b16 v26, v49
	ds_store_b16 v26, v60 offset:34
	ds_store_b16 v26, v61 offset:68
	;; [unrolled: 1-line block ×5, first 2 shown]
	ds_store_b16 v27, v50
	ds_store_b16 v27, v56 offset:34
	ds_store_b16 v27, v62 offset:68
	;; [unrolled: 1-line block ×5, first 2 shown]
	s_and_saveexec_b32 s1, s0
	s_cbranch_execz .LBB0_23
; %bb.22:
	v_add_f16_e32 v37, v21, v22
	v_add_f16_e32 v50, v11, v21
	v_add_f16_e32 v51, v51, v53
	v_sub_f16_e32 v40, v16, v2
	v_mul_f16_e32 v49, 0xbaee, v18
	v_fma_f16 v11, -0.5, v37, v11
	v_mul_f16_e32 v37, 0xbaee, v38
	v_add_f16_e32 v50, v50, v22
	v_add_f16_e32 v51, v51, v52
	v_fmac_f16_e32 v49, -0.5, v17
	v_fmamk_f16 v52, v40, 0x3aee, v11
	v_fmac_f16_e32 v37, 0.5, v19
	v_fmac_f16_e32 v11, 0xbaee, v40
	v_add3_u32 v40, 0, v20, v8
	v_add_f16_e32 v53, v50, v51
	v_sub_f16_e32 v54, v52, v49
	v_add_f16_e32 v49, v52, v49
	v_add_f16_e32 v55, v11, v37
	v_sub_f16_e32 v50, v50, v51
	v_sub_f16_e32 v11, v11, v37
	ds_store_b16 v40, v53 offset:2448
	ds_store_b16 v40, v55 offset:2482
	;; [unrolled: 1-line block ×6, first 2 shown]
.LBB0_23:
	s_wait_alu 0xfffe
	s_or_b32 exec_lo, exec_lo, s1
	v_add_f16_e32 v11, v43, v33
	v_add_f16_e32 v37, v0, v43
	v_sub_f16_e32 v30, v30, v31
	v_add_f16_e32 v31, v36, v39
	v_mul_f16_e32 v36, 0.5, v48
	v_fmac_f16_e32 v0, -0.5, v11
	v_mul_f16_e32 v11, -0.5, v45
	v_add_f16_e32 v39, v1, v42
	v_add_f16_e32 v33, v37, v33
	;; [unrolled: 1-line block ×3, first 2 shown]
	v_fmac_f16_e32 v36, 0x3aee, v47
	v_fmac_f16_e32 v11, 0x3aee, v28
	v_add_f16_e32 v28, v42, v41
	v_fmamk_f16 v34, v30, 0x3aee, v0
	v_fmac_f16_e32 v0, 0xbaee, v30
	v_sub_f16_e32 v24, v24, v25
	v_add_f16_e32 v39, v39, v41
	v_fmac_f16_e32 v1, -0.5, v28
	v_add_f16_e32 v25, v32, v35
	v_mul_f16_e32 v41, 0.5, v46
	v_mul_f16_e32 v43, -0.5, v7
	v_add_f16_e32 v30, v33, v31
	v_add_f16_e32 v37, v34, v36
	;; [unrolled: 1-line block ×3, first 2 shown]
	v_sub_f16_e32 v42, v33, v31
	v_fmamk_f16 v45, v24, 0x3aee, v1
	v_fmac_f16_e32 v1, 0xbaee, v24
	v_add_f16_e32 v46, v25, v15
	v_fmac_f16_e32 v41, 0x3aee, v44
	v_fmac_f16_e32 v43, 0x3aee, v23
	v_sub_f16_e32 v23, v34, v36
	v_sub_f16_e32 v44, v0, v11
	global_wb scope:SCOPE_SE
	s_wait_dscnt 0x0
	s_barrier_signal -1
	s_barrier_wait -1
	global_inv scope:SCOPE_SE
	ds_load_u16 v0, v13
	ds_load_u16 v33, v12 offset:204
	ds_load_u16 v31, v12 offset:408
	;; [unrolled: 1-line block ×12, first 2 shown]
	v_add_f16_e32 v47, v39, v46
	v_add_f16_e32 v48, v45, v41
	;; [unrolled: 1-line block ×3, first 2 shown]
	v_sub_f16_e32 v39, v39, v46
	v_sub_f16_e32 v41, v45, v41
	;; [unrolled: 1-line block ×3, first 2 shown]
	global_wb scope:SCOPE_SE
	s_wait_dscnt 0x0
	s_barrier_signal -1
	s_barrier_wait -1
	global_inv scope:SCOPE_SE
	ds_store_b16 v26, v30
	ds_store_b16 v26, v37 offset:34
	ds_store_b16 v26, v40 offset:68
	;; [unrolled: 1-line block ×5, first 2 shown]
	ds_store_b16 v27, v47
	ds_store_b16 v27, v48 offset:34
	ds_store_b16 v27, v49 offset:68
	;; [unrolled: 1-line block ×5, first 2 shown]
	s_and_saveexec_b32 s1, s0
	s_cbranch_execz .LBB0_25
; %bb.24:
	v_add_f16_e32 v1, v16, v2
	v_add_f16_e32 v16, v29, v16
	;; [unrolled: 1-line block ×3, first 2 shown]
	v_sub_f16_e32 v21, v21, v22
	v_mul_f16_e32 v14, 0.5, v38
	v_fmac_f16_e32 v29, -0.5, v1
	v_mul_f16_e32 v1, -0.5, v18
	v_add_f16_e32 v2, v16, v2
	v_add_f16_e32 v3, v6, v3
	v_fmac_f16_e32 v14, 0x3aee, v19
	v_fmamk_f16 v6, v21, 0x3aee, v29
	v_fmac_f16_e32 v1, 0x3aee, v17
	v_fmac_f16_e32 v29, 0xbaee, v21
	v_add3_u32 v8, 0, v20, v8
	v_add_f16_e32 v16, v2, v3
	v_add_f16_e32 v17, v6, v14
	v_sub_f16_e32 v2, v2, v3
	v_add_f16_e32 v18, v29, v1
	v_sub_f16_e32 v3, v6, v14
	v_sub_f16_e32 v1, v29, v1
	ds_store_b16 v8, v16 offset:2448
	ds_store_b16 v8, v17 offset:2482
	;; [unrolled: 1-line block ×6, first 2 shown]
.LBB0_25:
	s_wait_alu 0xfffe
	s_or_b32 exec_lo, exec_lo, s1
	global_wb scope:SCOPE_SE
	s_wait_dscnt 0x0
	s_barrier_signal -1
	s_barrier_wait -1
	global_inv scope:SCOPE_SE
	s_and_saveexec_b32 s0, vcc_lo
	s_cbranch_execz .LBB0_27
; %bb.26:
	v_mul_u32_u24_e32 v1, 12, v10
	s_delay_alu instid0(VALU_DEP_1)
	v_lshlrev_b32_e32 v1, 2, v1
	s_clause 0x2
	global_load_b128 v[37:40], v1, s[4:5] offset:340
	global_load_b128 v[41:44], v1, s[4:5] offset:372
	;; [unrolled: 1-line block ×3, first 2 shown]
	ds_load_u16 v2, v12 offset:612
	ds_load_u16 v3, v12 offset:816
	;; [unrolled: 1-line block ×7, first 2 shown]
	ds_load_u16 v1, v13
	ds_load_u16 v13, v12 offset:2448
	ds_load_u16 v22, v12 offset:2244
	;; [unrolled: 1-line block ×5, first 2 shown]
	s_wait_loadcnt 0x2
	v_lshrrev_b32_e32 v16, 16, v37
	v_mul_f16_e32 v52, v33, v37
	s_wait_loadcnt 0x1
	v_lshrrev_b32_e32 v56, 16, v44
	v_lshrrev_b32_e32 v21, 16, v38
	;; [unrolled: 1-line block ×4, first 2 shown]
	v_mul_f16_e32 v17, v36, v44
	v_mul_f16_e32 v57, v31, v38
	s_wait_dscnt 0x6
	v_fmac_f16_e32 v52, v10, v16
	v_mul_f16_e32 v36, v36, v56
	v_mul_f16_e32 v33, v33, v16
	v_lshrrev_b32_e32 v50, 16, v39
	v_lshrrev_b32_e32 v51, 16, v40
	;; [unrolled: 1-line block ×3, first 2 shown]
	v_mul_f16_e32 v18, v35, v43
	v_mul_f16_e32 v58, v28, v39
	v_mul_f16_e32 v59, v24, v40
	v_mul_f16_e32 v20, v32, v41
	s_wait_loadcnt 0x0
	v_lshrrev_b32_e32 v63, 16, v48
	v_fmac_f16_e32 v57, v8, v21
	v_mul_f16_e32 v35, v35, v55
	v_mul_f16_e32 v31, v31, v21
	;; [unrolled: 1-line block ×3, first 2 shown]
	s_wait_dscnt 0x4
	v_fma_f16 v21, v13, v44, -v36
	v_fma_f16 v33, v10, v37, -v33
	v_add_f16_e32 v36, v0, v52
	v_mul_f16_e32 v19, v34, v42
	v_lshrrev_b32_e32 v60, 16, v45
	v_mul_f16_e32 v23, v25, v48
	v_fmac_f16_e32 v17, v13, v56
	s_wait_dscnt 0x3
	v_fmac_f16_e32 v18, v22, v55
	v_fmac_f16_e32 v58, v2, v50
	v_mul_f16_e32 v34, v34, v54
	v_mul_f16_e32 v28, v28, v50
	v_fmac_f16_e32 v59, v3, v51
	s_wait_dscnt 0x1
	v_fmac_f16_e32 v20, v49, v53
	v_mul_f16_e32 v50, v24, v51
	v_mul_f16_e32 v51, v25, v63
	v_fma_f16 v22, v22, v43, -v35
	v_fma_f16 v31, v8, v38, -v31
	;; [unrolled: 1-line block ×3, first 2 shown]
	v_add_f16_e32 v38, v33, v21
	v_sub_f16_e32 v49, v33, v21
	v_add_f16_e32 v36, v36, v57
	v_add_f16_e32 v33, v33, v1
	v_lshrrev_b32_e32 v61, 16, v46
	v_lshrrev_b32_e32 v62, 16, v47
	v_mul_f16_e32 v64, v15, v45
	v_mul_f16_e32 v15, v15, v60
	v_sub_f16_e32 v16, v52, v17
	v_fma_f16 v24, v27, v42, -v34
	v_fma_f16 v34, v2, v39, -v28
	;; [unrolled: 1-line block ×3, first 2 shown]
	v_add_f16_e32 v40, v31, v22
	v_sub_f16_e32 v50, v31, v22
	v_add_f16_e32 v36, v36, v58
	v_add_f16_e32 v31, v33, v31
	v_mul_f16_e32 v30, v7, v46
	v_mul_f16_e32 v26, v11, v47
	v_fmac_f16_e32 v19, v27, v54
	v_fmac_f16_e32 v64, v6, v60
	v_mul_f16_e32 v11, v11, v62
	v_mul_f16_e32 v53, v7, v61
	v_sub_f16_e32 v13, v57, v18
	v_fma_f16 v35, v6, v45, -v15
	v_add_f16_e32 v15, v52, v17
	v_mul_f16_e32 v55, 0xb3a8, v16
	v_mul_f16_e32 v82, 0xb3a8, v49
	v_add_f16_e32 v36, v36, v59
	v_add_f16_e32 v31, v31, v34
	v_fmac_f16_e32 v30, v14, v61
	v_fmac_f16_e32 v26, v29, v62
	v_sub_f16_e32 v10, v58, v19
	v_fma_f16 v28, v29, v47, -v11
	v_fma_f16 v29, v14, v46, -v53
	v_add_f16_e32 v14, v57, v18
	v_mul_f16_e32 v37, 0xb94e, v16
	v_mul_f16_e32 v56, 0x3770, v13
	v_fmamk_f16 v76, v38, 0xbbc4, v55
	v_mul_f16_e32 v83, 0x3770, v50
	v_fma_f16 v55, v38, 0xbbc4, -v55
	v_mul_f16_e32 v94, 0xbb7b, v49
	v_fma_f16 v128, v15, 0xbbc4, -v82
	v_add_f16_e32 v36, v36, v64
	v_add_f16_e32 v31, v31, v32
	s_wait_dscnt 0x0
	v_fmac_f16_e32 v23, v12, v63
	v_sub_f16_e32 v8, v59, v20
	v_sub_f16_e32 v2, v30, v26
	v_add_f16_e32 v11, v59, v20
	v_add_f16_e32 v3, v30, v26
	v_mul_f16_e32 v39, 0x3bf1, v13
	v_add_f16_e32 v42, v34, v24
	v_mul_f16_e32 v60, 0xb94e, v10
	v_fmamk_f16 v57, v38, 0xb9fd, v37
	v_fmamk_f16 v77, v40, 0x3b15, v56
	v_fma_f16 v56, v40, 0x3b15, -v56
	v_fma_f16 v37, v38, 0xb9fd, -v37
	v_mul_f16_e32 v95, 0x394e, v50
	v_mul_f16_e32 v100, 0x2fb7, v38
	;; [unrolled: 1-line block ×3, first 2 shown]
	v_fma_f16 v129, v14, 0x3b15, -v83
	v_add_f16_e32 v55, v1, v55
	v_fmac_f16_e32 v82, 0xbbc4, v15
	v_fmamk_f16 v59, v15, 0xb5ac, v94
	v_add_f16_e64 v128, v0, v128
	v_add_f16_e32 v30, v36, v30
	v_add_f16_e32 v31, v31, v35
	v_sub_f16_e32 v7, v64, v23
	v_fma_f16 v27, v12, v48, -v51
	v_add_f16_e32 v6, v64, v23
	v_mul_f16_e32 v41, 0xba95, v10
	v_add_f16_e32 v48, v29, v28
	v_sub_f16_e32 v51, v34, v24
	v_sub_f16_e32 v54, v29, v28
	v_fmamk_f16 v65, v40, 0x2fb7, v39
	v_fmamk_f16 v78, v42, 0xb9fd, v60
	v_fma_f16 v60, v42, 0xb9fd, -v60
	v_fma_f16 v39, v40, 0x2fb7, -v39
	v_mul_f16_e32 v88, 0xb5ac, v38
	v_mul_f16_e32 v101, 0xbbc4, v40
	;; [unrolled: 1-line block ×5, first 2 shown]
	v_fmac_f16_e32 v83, 0x3b15, v14
	v_add_f16_e32 v37, v1, v37
	v_fmamk_f16 v34, v14, 0xb9fd, v95
	v_add_f16_e32 v55, v55, v56
	v_fmamk_f16 v64, v16, 0x3bf1, v100
	v_add_f16_e32 v82, v0, v82
	v_add_f16_e64 v128, v128, v129
	v_fma_f16 v129, 0x2fb7, v15, v106
	v_add_f16_e32 v59, v0, v59
	v_add_f16_e32 v26, v30, v26
	;; [unrolled: 1-line block ×4, first 2 shown]
	v_sub_f16_e32 v52, v32, v25
	v_fmamk_f16 v66, v42, 0x388b, v41
	v_mul_f16_e32 v70, 0xb94e, v49
	v_fma_f16 v41, v42, 0x388b, -v41
	v_mul_f16_e32 v89, 0xb9fd, v40
	v_mul_f16_e32 v113, 0xb5ac, v40
	;; [unrolled: 1-line block ×5, first 2 shown]
	v_add_f16_e32 v33, v1, v57
	v_add_f16_e32 v37, v37, v39
	v_fmamk_f16 v32, v13, 0x33a8, v101
	v_add_f16_e32 v55, v55, v60
	v_fmamk_f16 v60, v14, 0xbbc4, v107
	;; [unrolled: 2-line block ×3, first 2 shown]
	v_add_f16_e32 v64, v1, v64
	v_add_f16_e64 v129, v0, v129
	v_add_f16_e32 v34, v59, v34
	v_fmamk_f16 v59, v16, 0x3770, v38
	v_add_f16_e32 v23, v23, v26
	v_add_f16_e32 v26, v29, v28
	;; [unrolled: 1-line block ×3, first 2 shown]
	v_mul_f16_e32 v71, 0x3bf1, v50
	v_mul_f16_e32 v102, 0xb5ac, v42
	;; [unrolled: 1-line block ×5, first 2 shown]
	v_fma_f16 v57, v15, 0xb9fd, -v70
	v_add_f16_e32 v33, v33, v65
	v_add_f16_e32 v37, v37, v41
	v_fmamk_f16 v41, v13, 0x3b7b, v113
	v_add_f16_e32 v83, v1, v83
	v_add_f16_e32 v32, v64, v32
	v_fmamk_f16 v64, v13, 0x3a95, v40
	v_add_f16_e64 v60, v129, v60
	v_fma_f16 v129, 0x3b15, v15, v49
	v_add_f16_e32 v59, v1, v59
	v_add_f16_e32 v20, v20, v23
	;; [unrolled: 1-line block ×3, first 2 shown]
	v_sub_f16_e32 v53, v35, v27
	v_mul_f16_e32 v96, 0x3770, v51
	v_mul_f16_e32 v103, 0x3b15, v44
	;; [unrolled: 1-line block ×3, first 2 shown]
	v_fma_f16 v58, v14, 0x2fb7, -v71
	v_add_f16_e32 v57, v0, v57
	v_add_f16_e32 v33, v33, v66
	v_fmamk_f16 v66, v10, 0xbb7b, v102
	v_add_f16_e32 v41, v83, v41
	v_fmamk_f16 v83, v14, 0x388b, v50
	v_add_f16_e64 v129, v0, v129
	v_add_f16_e32 v59, v59, v64
	v_fmamk_f16 v64, v12, 0xb5ac, v108
	v_add_f16_e32 v19, v19, v20
	v_add_f16_e32 v20, v25, v23
	v_mul_f16_e32 v97, 0xbbf1, v52
	v_mul_f16_e32 v110, 0xba95, v53
	v_add_f16_e32 v76, v1, v76
	v_fmamk_f16 v65, v12, 0x3b15, v96
	v_add_f16_e32 v57, v57, v58
	v_fmamk_f16 v58, v8, 0xb770, v103
	v_add_f16_e64 v83, v129, v83
	v_fma_f16 v129, 0x3b15, v11, v109
	v_add_f16_e32 v32, v32, v66
	v_add_f16_e32 v60, v60, v64
	v_fma_f16 v94, v15, 0xb5ac, -v94
	v_add_f16_e32 v18, v18, v19
	v_add_f16_e32 v19, v24, v20
	v_mul_f16_e32 v98, 0x33a8, v53
	v_mul_f16_e32 v111, 0xb94e, v54
	v_fma_f16 v134, 0x3b7b, v16, v88
	v_add_f16_e32 v76, v76, v77
	v_fmamk_f16 v77, v11, 0x2fb7, v97
	v_fmac_f16_e32 v88, 0xbb7b, v16
	v_fmamk_f16 v36, v6, 0x388b, v110
	v_add_f16_e32 v34, v34, v65
	v_add_f16_e32 v32, v32, v58
	v_add_f16_e64 v58, v60, v129
	v_add_f16_e32 v17, v17, v18
	v_add_f16_e32 v18, v22, v19
	;; [unrolled: 1-line block ×3, first 2 shown]
	v_fma_f16 v22, v14, 0xb9fd, -v95
	v_mul_f16_e32 v43, 0x33a8, v8
	v_add_f16_e32 v46, v35, v27
	v_mul_f16_e32 v99, 0x3a95, v54
	v_mul_f16_e32 v114, 0xbbc4, v42
	v_fmac_f16_e32 v70, 0xb9fd, v15
	v_fma_f16 v135, 0xb94e, v13, v89
	v_fmamk_f16 v56, v6, 0xbbc4, v98
	v_fmac_f16_e32 v89, 0x394e, v13
	v_add_f16_e32 v88, v1, v88
	v_fmamk_f16 v35, v3, 0xb9fd, v111
	v_add_f16_e32 v34, v34, v77
	v_add_f16_e32 v36, v58, v36
	v_add_f16_e32 v18, v21, v18
	v_add_f16_e32 v19, v19, v22
	v_fma_f16 v21, v12, 0x3b15, -v96
	v_fmamk_f16 v67, v44, 0xbbc4, v43
	v_mul_f16_e32 v72, 0xba95, v51
	v_mul_f16_e32 v115, 0xb9fd, v44
	v_fmac_f16_e32 v71, 0x2fb7, v14
	v_fmamk_f16 v39, v3, 0x388b, v99
	v_add_f16_e32 v70, v0, v70
	v_add_f16_e32 v88, v88, v89
	v_fmamk_f16 v89, v10, 0x33a8, v114
	v_add_f16_e32 v34, v34, v56
	v_add_f16_e32 v25, v36, v35
	;; [unrolled: 1-line block ×3, first 2 shown]
	v_fma_f16 v21, v11, 0x2fb7, -v97
	v_fma_f16 v36, v15, 0x2fb7, -v106
	v_mul_f16_e32 v61, 0x3a95, v8
	v_mul_f16_e32 v104, 0x388b, v46
	;; [unrolled: 1-line block ×3, first 2 shown]
	v_fma_f16 v124, v12, 0x388b, -v72
	v_add_f16_e64 v134, v1, v134
	v_add_f16_e32 v70, v70, v71
	v_fmamk_f16 v71, v15, 0x388b, v118
	v_add_f16_e32 v33, v33, v67
	v_fmamk_f16 v67, v8, 0xb94e, v115
	v_add_f16_e32 v41, v41, v89
	v_add_f16_e32 v34, v34, v39
	;; [unrolled: 1-line block ×3, first 2 shown]
	v_fma_f16 v21, v6, 0xbbc4, -v98
	v_add_f16_e32 v36, v0, v36
	v_fma_f16 v39, v14, 0xbbc4, -v107
	v_fmamk_f16 v79, v44, 0x388b, v61
	v_mul_f16_e32 v90, 0x3b15, v42
	v_mul_f16_e32 v105, 0xb9fd, v48
	;; [unrolled: 1-line block ×3, first 2 shown]
	v_add_f16_e32 v76, v76, v78
	v_fmamk_f16 v78, v7, 0x3a95, v104
	v_add_f16_e64 v134, v134, v135
	v_fma_f16 v135, 0xb5ac, v14, v119
	v_add_f16_e32 v71, v0, v71
	v_add_f16_e32 v57, v57, v124
	v_fmamk_f16 v124, v7, 0xbbf1, v116
	v_add_f16_e32 v41, v41, v67
	v_add_f16_e32 v19, v19, v21
	v_fma_f16 v21, v3, 0x388b, -v99
	v_add_f16_e32 v36, v36, v39
	v_fma_f16 v39, v12, 0xb5ac, -v108
	v_mul_f16_e32 v91, 0x2fb7, v44
	v_fma_f16 v136, 0xb770, v10, v90
	v_add_f16_e64 v71, v71, v135
	v_fma_f16 v135, 0x394e, v2, v105
	v_add_f16_e32 v76, v76, v79
	v_fmamk_f16 v79, v2, 0xb770, v117
	v_fmac_f16_e32 v90, 0x3770, v10
	v_add_f16_e32 v32, v32, v78
	v_add_f16_e32 v41, v41, v124
	;; [unrolled: 1-line block ×4, first 2 shown]
	v_fma_f16 v36, v11, 0x3b15, -v109
	v_mul_f16_e32 v92, 0xbbc4, v46
	v_fma_f16 v137, 0x3bf1, v8, v91
	v_fmac_f16_e32 v91, 0xbbf1, v8
	v_add_f16_e32 v30, v88, v90
	v_add_f16_e64 v23, v32, v135
	v_add_f16_e32 v32, v41, v79
	v_add_f16_e32 v21, v21, v36
	v_fma_f16 v36, v6, 0x388b, -v110
	v_fma_f16 v41, v15, 0x388b, -v118
	v_mul_f16_e32 v84, 0xb94e, v51
	v_mul_f16_e32 v120, 0xb3a8, v51
	v_fma_f16 v138, 0xb3a8, v7, v92
	v_add_f16_e32 v30, v30, v91
	v_fmac_f16_e32 v92, 0x33a8, v7
	v_fmac_f16_e32 v100, 0xbbf1, v16
	;; [unrolled: 1-line block ×3, first 2 shown]
	v_add_f16_e32 v21, v21, v36
	v_add_f16_e32 v36, v0, v41
	v_fma_f16 v41, v14, 0xb5ac, -v119
	v_fmac_f16_e32 v38, 0xb770, v16
	v_mul_f16_e32 v121, 0x394e, v52
	v_mul_f16_e32 v42, 0x2fb7, v42
	v_fma_f16 v130, v12, 0xb9fd, -v84
	v_fmac_f16_e32 v72, 0x388b, v12
	v_add_f16_e32 v22, v30, v92
	v_add_f16_e32 v30, v1, v100
	;; [unrolled: 1-line block ×3, first 2 shown]
	v_fmac_f16_e32 v113, 0xbb7b, v13
	v_add_f16_e32 v16, v36, v41
	v_fma_f16 v36, v12, 0xbbc4, -v120
	v_add_f16_e32 v1, v1, v38
	v_fmac_f16_e32 v40, 0xba95, v13
	v_mul_f16_e32 v45, 0x3770, v7
	v_mul_f16_e32 v62, 0xbb7b, v7
	v_fma_f16 v61, v44, 0x388b, -v61
	v_fma_f16 v43, v44, 0xbbc4, -v43
	v_mul_f16_e32 v122, 0x3bf1, v53
	v_mul_f16_e32 v44, 0xb5ac, v44
	v_add_f16_e64 v128, v128, v130
	v_fma_f16 v130, 0xbbc4, v12, v120
	v_add_f16_e32 v70, v70, v72
	v_fmamk_f16 v72, v10, 0x3bf1, v42
	v_fmac_f16_e32 v101, 0xb3a8, v13
	v_add_f16_e32 v39, v39, v113
	v_fmac_f16_e32 v114, 0xb3a8, v10
	v_add_f16_e32 v13, v16, v36
	v_fma_f16 v16, v11, 0xb9fd, -v121
	v_fma_f16 v15, v15, 0x3b15, -v49
	v_add_f16_e32 v1, v1, v40
	v_fmac_f16_e32 v42, 0xbbf1, v10
	v_mul_f16_e32 v47, 0xbb7b, v2
	v_mul_f16_e32 v63, 0x3bf1, v2
	v_fmamk_f16 v68, v46, 0x3b15, v45
	v_fmamk_f16 v80, v46, 0xb5ac, v62
	v_fma_f16 v62, v46, 0xb5ac, -v62
	v_fma_f16 v45, v46, 0x3b15, -v45
	v_mul_f16_e32 v46, 0xb9fd, v46
	v_mul_f16_e32 v51, 0xbbf1, v51
	v_fmac_f16_e32 v84, 0xb9fd, v12
	v_add_f16_e32 v55, v55, v61
	v_fmamk_f16 v61, v11, 0xb9fd, v121
	v_add_f16_e64 v134, v134, v136
	v_fma_f16 v136, 0x3b7b, v8, v44
	v_add_f16_e64 v71, v71, v130
	v_fmac_f16_e32 v102, 0x3b7b, v10
	v_add_f16_e32 v39, v39, v114
	v_fmac_f16_e32 v115, 0x394e, v8
	v_add_f16_e32 v10, v13, v16
	v_fma_f16 v13, v6, 0x2fb7, -v122
	v_add_f16_e32 v0, v0, v15
	v_fma_f16 v14, v14, 0x388b, -v50
	v_add_f16_e32 v1, v1, v42
	v_fmac_f16_e32 v44, 0xbb7b, v8
	v_fmamk_f16 v69, v48, 0xb5ac, v47
	v_mul_f16_e32 v73, 0x33a8, v52
	v_fmamk_f16 v81, v48, 0x2fb7, v63
	v_mul_f16_e32 v85, 0x3a95, v52
	v_fma_f16 v63, v48, 0x2fb7, -v63
	v_fma_f16 v47, v48, 0xb5ac, -v47
	v_mul_f16_e32 v93, 0x388b, v48
	v_mul_f16_e32 v123, 0x3770, v54
	;; [unrolled: 1-line block ×4, first 2 shown]
	v_add_f16_e32 v82, v82, v84
	v_fmamk_f16 v84, v6, 0x2fb7, v122
	v_fmamk_f16 v65, v7, 0x394e, v46
	;; [unrolled: 1-line block ×3, first 2 shown]
	v_add_f16_e32 v60, v71, v61
	v_fmac_f16_e32 v103, 0x3770, v8
	v_add_f16_e32 v39, v39, v115
	v_fmac_f16_e32 v116, 0x3bf1, v7
	v_add_f16_e32 v8, v10, v13
	v_add_f16_e32 v10, v0, v14
	v_fma_f16 v12, v12, 0x2fb7, -v51
	v_add_f16_e32 v13, v1, v44
	v_fmac_f16_e32 v46, 0xb94e, v7
	v_mul_f16_e32 v74, 0x3770, v53
	v_mul_f16_e32 v86, 0xbb7b, v53
	;; [unrolled: 1-line block ×3, first 2 shown]
	v_add_f16_e32 v37, v37, v43
	v_fmamk_f16 v43, v3, 0x3b15, v123
	v_fmamk_f16 v66, v2, 0x33a8, v48
	v_add_f16_e32 v56, v60, v84
	v_fmac_f16_e32 v104, 0xba95, v7
	v_add_f16_e32 v36, v39, v116
	v_fmac_f16_e32 v117, 0x3770, v2
	v_add_f16_e32 v7, v10, v12
	v_fma_f16 v10, v11, 0xb5ac, -v52
	v_add_f16_e32 v12, v13, v46
	v_fmac_f16_e32 v48, 0xb3a8, v2
	v_fma_f16 v125, v11, 0xbbc4, -v73
	v_fma_f16 v131, v11, 0x388b, -v85
	v_fmac_f16_e32 v85, 0x388b, v11
	v_fmac_f16_e32 v73, 0xbbc4, v11
	v_fmamk_f16 v89, v11, 0xb5ac, v52
	v_add_f16_e32 v20, v56, v43
	v_fma_f16 v43, v3, 0xb9fd, -v111
	v_fma_f16 v11, v3, 0x3b15, -v123
	v_add_f16_e32 v10, v7, v10
	v_fma_f16 v14, v6, 0xb9fd, -v53
	v_add_f16_e32 v16, v36, v117
	v_add_f16_e32 v36, v12, v48
	v_add_nc_u32_e32 v12, 0xcc, v9
	v_add_f16_e32 v15, v21, v43
	v_add_f16_e32 v21, v8, v11
	;; [unrolled: 1-line block ×3, first 2 shown]
	v_mad_co_u64_u32 v[0:1], null, s8, v9, 0
	v_mad_co_u64_u32 v[10:11], null, s8, v12, 0
	v_add_nc_u32_e32 v13, 0x66, v9
	v_fma_f16 v126, v6, 0x3b15, -v74
	v_fma_f16 v132, v6, 0xb5ac, -v86
	v_fmac_f16_e32 v86, 0xb5ac, v6
	v_fmac_f16_e32 v74, 0x3b15, v6
	v_fma_f16 v130, 0xb9fd, v6, v53
	v_mad_co_u64_u32 v[6:7], null, s8, v13, 0
	v_mul_f16_e32 v75, 0xbb7b, v54
	v_mul_f16_e32 v87, 0x3bf1, v54
	;; [unrolled: 1-line block ×3, first 2 shown]
	v_fma_f16 v139, 0xba95, v2, v93
	v_add_f16_e32 v59, v59, v72
	v_fma_f16 v127, v3, 0xb5ac, -v75
	v_fma_f16 v133, v3, 0x2fb7, -v87
	v_fmac_f16_e32 v87, 0x2fb7, v3
	v_fmac_f16_e32 v75, 0xb5ac, v3
	v_fmamk_f16 v72, v3, 0xbbc4, v54
	v_fmac_f16_e32 v93, 0x3a95, v2
	v_fmac_f16_e32 v105, 0xb94e, v2
	v_mad_co_u64_u32 v[1:2], null, s9, v9, v[1:2]
	v_fma_f16 v38, v3, 0xbbc4, -v54
	v_lshlrev_b64_e32 v[3:4], 2, v[4:5]
	v_mov_b32_e32 v2, v7
	v_add_f16_e32 v64, v83, v64
	v_add_f16_e64 v59, v59, v136
	v_pack_b32_f16 v17, v17, v18
	v_lshlrev_b64_e32 v[0:1], 2, v[0:1]
	v_mad_co_u64_u32 v[7:8], null, s9, v13, v[2:3]
	v_dual_mov_b32 v2, v11 :: v_dual_add_nc_u32 v13, 0x132, v9
	v_add_co_u32 v39, vcc_lo, s10, v3
	s_wait_alu 0xfffd
	v_add_co_ci_u32_e32 v40, vcc_lo, s11, v4, vcc_lo
	s_delay_alu instid0(VALU_DEP_3) | instskip(SKIP_4) | instid1(VALU_DEP_4)
	v_mad_co_u64_u32 v[3:4], null, s8, v13, 0
	v_add_f16_e32 v61, v64, v89
	v_add_f16_e32 v58, v59, v65
	v_lshlrev_b64_e32 v[5:6], 2, v[6:7]
	v_add_co_u32 v0, vcc_lo, v39, v0
	v_add_f16_e64 v59, v61, v130
	v_mad_co_u64_u32 v[7:8], null, s9, v12, v[2:3]
	v_mov_b32_e32 v2, v4
	v_add_f16_e32 v24, v58, v66
	s_delay_alu instid0(VALU_DEP_4)
	v_add_f16_e32 v35, v59, v72
	s_wait_alu 0xfffd
	v_add_co_ci_u32_e32 v1, vcc_lo, v40, v1, vcc_lo
	v_mad_co_u64_u32 v[12:13], null, s9, v13, v[2:3]
	v_add_co_u32 v4, vcc_lo, v39, v5
	v_add_nc_u32_e32 v13, 0x198, v9
	s_wait_alu 0xfffd
	v_add_co_ci_u32_e32 v5, vcc_lo, v40, v6, vcc_lo
	v_pack_b32_f16 v6, v35, v24
	v_add_f16_e32 v18, v14, v38
	v_add_nc_u32_e32 v14, 0x1fe, v9
	s_clause 0x1
	global_store_b32 v[0:1], v17, off
	global_store_b32 v[4:5], v6, off
	v_mov_b32_e32 v4, v12
	v_mad_co_u64_u32 v[5:6], null, s8, v13, 0
	v_mov_b32_e32 v11, v7
	v_mad_co_u64_u32 v[7:8], null, s8, v14, 0
	v_pack_b32_f16 v17, v20, v32
	v_add_nc_u32_e32 v20, 0x264, v9
	v_lshlrev_b64_e32 v[2:3], 2, v[3:4]
	v_mov_b32_e32 v4, v6
	v_lshlrev_b64_e32 v[0:1], 2, v[10:11]
	v_add_f16_e32 v31, v33, v68
	v_mad_co_u64_u32 v[10:11], null, s8, v20, 0
	v_mov_b32_e32 v6, v8
	v_mad_co_u64_u32 v[12:13], null, s9, v13, v[4:5]
	v_add_co_u32 v0, vcc_lo, v39, v0
	s_delay_alu instid0(VALU_DEP_3)
	v_mad_co_u64_u32 v[13:14], null, s9, v14, v[6:7]
	v_mov_b32_e32 v4, v11
	s_wait_alu 0xfffd
	v_add_co_ci_u32_e32 v1, vcc_lo, v40, v1, vcc_lo
	v_mov_b32_e32 v6, v12
	v_add_co_u32 v2, vcc_lo, v39, v2
	v_mad_co_u64_u32 v[11:12], null, s9, v20, v[4:5]
	s_wait_alu 0xfffd
	v_add_co_ci_u32_e32 v3, vcc_lo, v40, v3, vcc_lo
	v_pack_b32_f16 v14, v25, v23
	v_mov_b32_e32 v8, v13
	v_add_nc_u32_e32 v12, 0x2ca, v9
	v_add_f16_e32 v33, v57, v125
	v_add_f16_e32 v57, v76, v80
	v_add_f16_e64 v68, v128, v131
	v_add_f16_e32 v55, v55, v62
	v_add_f16_e32 v62, v82, v85
	v_add_f16_e32 v37, v37, v45
	v_add_f16_e32 v45, v70, v73
	v_add_f16_e64 v70, v134, v137
	global_store_b32 v[0:1], v17, off
	v_lshlrev_b64_e32 v[0:1], 2, v[5:6]
	global_store_b32 v[2:3], v14, off
	v_lshlrev_b64_e32 v[2:3], 2, v[7:8]
	v_mad_co_u64_u32 v[4:5], null, s8, v12, 0
	v_add_f16_e32 v28, v31, v69
	v_add_f16_e32 v29, v33, v126
	;; [unrolled: 1-line block ×3, first 2 shown]
	v_add_f16_e64 v33, v68, v132
	v_add_f16_e32 v57, v62, v86
	v_add_f16_e32 v37, v37, v47
	;; [unrolled: 1-line block ×3, first 2 shown]
	v_add_f16_e64 v47, v70, v138
	v_lshlrev_b64_e32 v[6:7], 2, v[10:11]
	v_add_co_u32 v0, vcc_lo, v39, v0
	s_wait_alu 0xfffd
	v_add_co_ci_u32_e32 v1, vcc_lo, v40, v1, vcc_lo
	v_add_f16_e32 v55, v55, v63
	v_add_f16_e32 v26, v29, v127
	v_add_f16_e64 v27, v33, v133
	v_add_f16_e32 v29, v57, v87
	v_add_f16_e32 v33, v45, v75
	v_add_f16_e64 v45, v47, v139
	v_add_co_u32 v2, vcc_lo, v39, v2
	s_wait_alu 0xfffd
	v_add_co_ci_u32_e32 v3, vcc_lo, v40, v3, vcc_lo
	v_mad_co_u64_u32 v[10:11], null, s9, v12, v[5:6]
	v_add_co_u32 v6, vcc_lo, v39, v6
	v_pack_b32_f16 v8, v34, v45
	v_pack_b32_f16 v11, v33, v37
	s_wait_alu 0xfffd
	v_add_co_ci_u32_e32 v7, vcc_lo, v40, v7, vcc_lo
	v_pack_b32_f16 v12, v29, v55
	global_store_b32 v[0:1], v8, off
	v_mov_b32_e32 v5, v10
	global_store_b32 v[2:3], v11, off
	v_add_nc_u32_e32 v8, 0x330, v9
	global_store_b32 v[6:7], v12, off
	v_add_nc_u32_e32 v12, 0x396, v9
	v_add_nc_u32_e32 v14, 0x3fc, v9
	v_lshlrev_b64_e32 v[0:1], 2, v[4:5]
	v_mad_co_u64_u32 v[2:3], null, s8, v8, 0
	s_delay_alu instid0(VALU_DEP_4) | instskip(NEXT) | instid1(VALU_DEP_4)
	v_mad_co_u64_u32 v[4:5], null, s8, v12, 0
	v_mad_co_u64_u32 v[6:7], null, s8, v14, 0
	v_add_nc_u32_e32 v20, 0x462, v9
	v_add_co_u32 v0, vcc_lo, v39, v0
	s_wait_alu 0xfffd
	v_add_co_ci_u32_e32 v1, vcc_lo, v40, v1, vcc_lo
	v_mad_co_u64_u32 v[10:11], null, s9, v8, v[3:4]
	v_mad_co_u64_u32 v[11:12], null, s9, v12, v[5:6]
	;; [unrolled: 1-line block ×3, first 2 shown]
	v_mov_b32_e32 v5, v7
	v_pack_b32_f16 v17, v27, v31
	v_dual_mov_b32 v3, v10 :: v_dual_add_nc_u32 v10, 0x4c8, v9
	v_add_f16_e32 v30, v30, v101
	s_delay_alu instid0(VALU_DEP_4)
	v_mad_co_u64_u32 v[7:8], null, s9, v14, v[5:6]
	global_store_b32 v[0:1], v17, off
	v_lshlrev_b64_e32 v[0:1], 2, v[2:3]
	v_mov_b32_e32 v2, v13
	v_mad_co_u64_u32 v[8:9], null, s8, v10, 0
	v_mov_b32_e32 v5, v11
	v_add_f16_e32 v30, v30, v102
	s_delay_alu instid0(VALU_DEP_4) | instskip(SKIP_1) | instid1(VALU_DEP_4)
	v_mad_co_u64_u32 v[2:3], null, s9, v20, v[2:3]
	v_add_co_u32 v0, vcc_lo, v39, v0
	v_lshlrev_b64_e32 v[4:5], 2, v[4:5]
	v_mov_b32_e32 v3, v9
	v_add_f16_e32 v30, v30, v103
	s_wait_alu 0xfffd
	v_add_co_ci_u32_e32 v1, vcc_lo, v40, v1, vcc_lo
	v_mov_b32_e32 v13, v2
	v_mad_co_u64_u32 v[9:10], null, s9, v10, v[3:4]
	v_lshlrev_b64_e32 v[6:7], 2, v[6:7]
	v_add_co_u32 v2, vcc_lo, v39, v4
	v_add_f16_e32 v30, v30, v104
	s_wait_alu 0xfffd
	v_add_co_ci_u32_e32 v3, vcc_lo, v40, v5, vcc_lo
	v_lshlrev_b64_e32 v[4:5], 2, v[12:13]
	v_add_f16_e32 v22, v22, v93
	v_add_co_u32 v6, vcc_lo, v39, v6
	v_lshlrev_b64_e32 v[8:9], 2, v[8:9]
	v_add_f16_e32 v30, v30, v105
	s_wait_alu 0xfffd
	v_add_co_ci_u32_e32 v7, vcc_lo, v40, v7, vcc_lo
	v_add_co_u32 v4, vcc_lo, v39, v4
	v_pack_b32_f16 v11, v26, v28
	v_pack_b32_f16 v10, v19, v22
	s_wait_alu 0xfffd
	v_add_co_ci_u32_e32 v5, vcc_lo, v40, v5, vcc_lo
	v_pack_b32_f16 v12, v15, v30
	v_add_co_u32 v8, vcc_lo, v39, v8
	v_pack_b32_f16 v13, v21, v16
	s_wait_alu 0xfffd
	v_add_co_ci_u32_e32 v9, vcc_lo, v40, v9, vcc_lo
	v_pack_b32_f16 v14, v18, v36
	s_clause 0x4
	global_store_b32 v[0:1], v11, off
	global_store_b32 v[2:3], v10, off
	;; [unrolled: 1-line block ×5, first 2 shown]
.LBB0_27:
	s_nop 0
	s_sendmsg sendmsg(MSG_DEALLOC_VGPRS)
	s_endpgm
	.section	.rodata,"a",@progbits
	.p2align	6, 0x0
	.amdhsa_kernel fft_rtc_back_len1326_factors_17_6_13_wgs_204_tpt_102_halfLds_half_ip_CI_sbrr_dirReg
		.amdhsa_group_segment_fixed_size 0
		.amdhsa_private_segment_fixed_size 0
		.amdhsa_kernarg_size 88
		.amdhsa_user_sgpr_count 2
		.amdhsa_user_sgpr_dispatch_ptr 0
		.amdhsa_user_sgpr_queue_ptr 0
		.amdhsa_user_sgpr_kernarg_segment_ptr 1
		.amdhsa_user_sgpr_dispatch_id 0
		.amdhsa_user_sgpr_private_segment_size 0
		.amdhsa_wavefront_size32 1
		.amdhsa_uses_dynamic_stack 0
		.amdhsa_enable_private_segment 0
		.amdhsa_system_sgpr_workgroup_id_x 1
		.amdhsa_system_sgpr_workgroup_id_y 0
		.amdhsa_system_sgpr_workgroup_id_z 0
		.amdhsa_system_sgpr_workgroup_info 0
		.amdhsa_system_vgpr_workitem_id 0
		.amdhsa_next_free_vgpr 140
		.amdhsa_next_free_sgpr 35
		.amdhsa_reserve_vcc 1
		.amdhsa_float_round_mode_32 0
		.amdhsa_float_round_mode_16_64 0
		.amdhsa_float_denorm_mode_32 3
		.amdhsa_float_denorm_mode_16_64 3
		.amdhsa_fp16_overflow 0
		.amdhsa_workgroup_processor_mode 1
		.amdhsa_memory_ordered 1
		.amdhsa_forward_progress 0
		.amdhsa_round_robin_scheduling 0
		.amdhsa_exception_fp_ieee_invalid_op 0
		.amdhsa_exception_fp_denorm_src 0
		.amdhsa_exception_fp_ieee_div_zero 0
		.amdhsa_exception_fp_ieee_overflow 0
		.amdhsa_exception_fp_ieee_underflow 0
		.amdhsa_exception_fp_ieee_inexact 0
		.amdhsa_exception_int_div_zero 0
	.end_amdhsa_kernel
	.text
.Lfunc_end0:
	.size	fft_rtc_back_len1326_factors_17_6_13_wgs_204_tpt_102_halfLds_half_ip_CI_sbrr_dirReg, .Lfunc_end0-fft_rtc_back_len1326_factors_17_6_13_wgs_204_tpt_102_halfLds_half_ip_CI_sbrr_dirReg
                                        ; -- End function
	.section	.AMDGPU.csdata,"",@progbits
; Kernel info:
; codeLenInByte = 14868
; NumSgprs: 37
; NumVgprs: 140
; ScratchSize: 0
; MemoryBound: 0
; FloatMode: 240
; IeeeMode: 1
; LDSByteSize: 0 bytes/workgroup (compile time only)
; SGPRBlocks: 4
; VGPRBlocks: 17
; NumSGPRsForWavesPerEU: 37
; NumVGPRsForWavesPerEU: 140
; Occupancy: 10
; WaveLimiterHint : 1
; COMPUTE_PGM_RSRC2:SCRATCH_EN: 0
; COMPUTE_PGM_RSRC2:USER_SGPR: 2
; COMPUTE_PGM_RSRC2:TRAP_HANDLER: 0
; COMPUTE_PGM_RSRC2:TGID_X_EN: 1
; COMPUTE_PGM_RSRC2:TGID_Y_EN: 0
; COMPUTE_PGM_RSRC2:TGID_Z_EN: 0
; COMPUTE_PGM_RSRC2:TIDIG_COMP_CNT: 0
	.text
	.p2alignl 7, 3214868480
	.fill 96, 4, 3214868480
	.type	__hip_cuid_6b07b1307fb188bc,@object ; @__hip_cuid_6b07b1307fb188bc
	.section	.bss,"aw",@nobits
	.globl	__hip_cuid_6b07b1307fb188bc
__hip_cuid_6b07b1307fb188bc:
	.byte	0                               ; 0x0
	.size	__hip_cuid_6b07b1307fb188bc, 1

	.ident	"AMD clang version 19.0.0git (https://github.com/RadeonOpenCompute/llvm-project roc-6.4.0 25133 c7fe45cf4b819c5991fe208aaa96edf142730f1d)"
	.section	".note.GNU-stack","",@progbits
	.addrsig
	.addrsig_sym __hip_cuid_6b07b1307fb188bc
	.amdgpu_metadata
---
amdhsa.kernels:
  - .args:
      - .actual_access:  read_only
        .address_space:  global
        .offset:         0
        .size:           8
        .value_kind:     global_buffer
      - .offset:         8
        .size:           8
        .value_kind:     by_value
      - .actual_access:  read_only
        .address_space:  global
        .offset:         16
        .size:           8
        .value_kind:     global_buffer
      - .actual_access:  read_only
        .address_space:  global
        .offset:         24
        .size:           8
        .value_kind:     global_buffer
      - .offset:         32
        .size:           8
        .value_kind:     by_value
      - .actual_access:  read_only
        .address_space:  global
        .offset:         40
        .size:           8
        .value_kind:     global_buffer
      - .actual_access:  read_only
        .address_space:  global
        .offset:         48
        .size:           8
        .value_kind:     global_buffer
      - .offset:         56
        .size:           4
        .value_kind:     by_value
      - .actual_access:  read_only
        .address_space:  global
        .offset:         64
        .size:           8
        .value_kind:     global_buffer
      - .actual_access:  read_only
        .address_space:  global
        .offset:         72
        .size:           8
        .value_kind:     global_buffer
      - .address_space:  global
        .offset:         80
        .size:           8
        .value_kind:     global_buffer
    .group_segment_fixed_size: 0
    .kernarg_segment_align: 8
    .kernarg_segment_size: 88
    .language:       OpenCL C
    .language_version:
      - 2
      - 0
    .max_flat_workgroup_size: 204
    .name:           fft_rtc_back_len1326_factors_17_6_13_wgs_204_tpt_102_halfLds_half_ip_CI_sbrr_dirReg
    .private_segment_fixed_size: 0
    .sgpr_count:     37
    .sgpr_spill_count: 0
    .symbol:         fft_rtc_back_len1326_factors_17_6_13_wgs_204_tpt_102_halfLds_half_ip_CI_sbrr_dirReg.kd
    .uniform_work_group_size: 1
    .uses_dynamic_stack: false
    .vgpr_count:     140
    .vgpr_spill_count: 0
    .wavefront_size: 32
    .workgroup_processor_mode: 1
amdhsa.target:   amdgcn-amd-amdhsa--gfx1201
amdhsa.version:
  - 1
  - 2
...

	.end_amdgpu_metadata
